;; amdgpu-corpus repo=ROCm/rocFFT kind=compiled arch=gfx906 opt=O3
	.text
	.amdgcn_target "amdgcn-amd-amdhsa--gfx906"
	.amdhsa_code_object_version 6
	.protected	fft_rtc_back_len1989_factors_17_13_9_wgs_153_tpt_153_halfLds_sp_ip_CI_sbrr_dirReg ; -- Begin function fft_rtc_back_len1989_factors_17_13_9_wgs_153_tpt_153_halfLds_sp_ip_CI_sbrr_dirReg
	.globl	fft_rtc_back_len1989_factors_17_13_9_wgs_153_tpt_153_halfLds_sp_ip_CI_sbrr_dirReg
	.p2align	8
	.type	fft_rtc_back_len1989_factors_17_13_9_wgs_153_tpt_153_halfLds_sp_ip_CI_sbrr_dirReg,@function
fft_rtc_back_len1989_factors_17_13_9_wgs_153_tpt_153_halfLds_sp_ip_CI_sbrr_dirReg: ; @fft_rtc_back_len1989_factors_17_13_9_wgs_153_tpt_153_halfLds_sp_ip_CI_sbrr_dirReg
; %bb.0:
	s_load_dwordx2 s[2:3], s[4:5], 0x18
	s_load_dwordx4 s[8:11], s[4:5], 0x0
	s_load_dwordx2 s[14:15], s[4:5], 0x50
	v_mul_u32_u24_e32 v1, 0x1ad, v0
	v_add_u32_sdwa v5, s6, v1 dst_sel:DWORD dst_unused:UNUSED_PAD src0_sel:DWORD src1_sel:WORD_1
	s_waitcnt lgkmcnt(0)
	s_load_dwordx2 s[12:13], s[2:3], 0x0
	v_cmp_lt_u64_e64 s[0:1], s[10:11], 2
	v_mov_b32_e32 v3, 0
	v_mov_b32_e32 v1, 0
	;; [unrolled: 1-line block ×3, first 2 shown]
	s_and_b64 vcc, exec, s[0:1]
	v_mov_b32_e32 v2, 0
	s_cbranch_vccnz .LBB0_8
; %bb.1:
	s_load_dwordx2 s[0:1], s[4:5], 0x10
	s_add_u32 s6, s2, 8
	s_addc_u32 s7, s3, 0
	v_mov_b32_e32 v1, 0
	v_mov_b32_e32 v2, 0
	s_waitcnt lgkmcnt(0)
	s_add_u32 s16, s0, 8
	s_addc_u32 s17, s1, 0
	s_mov_b64 s[18:19], 1
.LBB0_2:                                ; =>This Inner Loop Header: Depth=1
	s_load_dwordx2 s[20:21], s[16:17], 0x0
                                        ; implicit-def: $vgpr7_vgpr8
	s_waitcnt lgkmcnt(0)
	v_or_b32_e32 v4, s21, v6
	v_cmp_ne_u64_e32 vcc, 0, v[3:4]
	s_and_saveexec_b64 s[0:1], vcc
	s_xor_b64 s[22:23], exec, s[0:1]
	s_cbranch_execz .LBB0_4
; %bb.3:                                ;   in Loop: Header=BB0_2 Depth=1
	v_cvt_f32_u32_e32 v4, s20
	v_cvt_f32_u32_e32 v7, s21
	s_sub_u32 s0, 0, s20
	s_subb_u32 s1, 0, s21
	v_mac_f32_e32 v4, 0x4f800000, v7
	v_rcp_f32_e32 v4, v4
	v_mul_f32_e32 v4, 0x5f7ffffc, v4
	v_mul_f32_e32 v7, 0x2f800000, v4
	v_trunc_f32_e32 v7, v7
	v_mac_f32_e32 v4, 0xcf800000, v7
	v_cvt_u32_f32_e32 v7, v7
	v_cvt_u32_f32_e32 v4, v4
	v_mul_lo_u32 v8, s0, v7
	v_mul_hi_u32 v9, s0, v4
	v_mul_lo_u32 v11, s1, v4
	v_mul_lo_u32 v10, s0, v4
	v_add_u32_e32 v8, v9, v8
	v_add_u32_e32 v8, v8, v11
	v_mul_hi_u32 v9, v4, v10
	v_mul_lo_u32 v11, v4, v8
	v_mul_hi_u32 v13, v4, v8
	v_mul_hi_u32 v12, v7, v10
	v_mul_lo_u32 v10, v7, v10
	v_mul_hi_u32 v14, v7, v8
	v_add_co_u32_e32 v9, vcc, v9, v11
	v_addc_co_u32_e32 v11, vcc, 0, v13, vcc
	v_mul_lo_u32 v8, v7, v8
	v_add_co_u32_e32 v9, vcc, v9, v10
	v_addc_co_u32_e32 v9, vcc, v11, v12, vcc
	v_addc_co_u32_e32 v10, vcc, 0, v14, vcc
	v_add_co_u32_e32 v8, vcc, v9, v8
	v_addc_co_u32_e32 v9, vcc, 0, v10, vcc
	v_add_co_u32_e32 v4, vcc, v4, v8
	v_addc_co_u32_e32 v7, vcc, v7, v9, vcc
	v_mul_lo_u32 v8, s0, v7
	v_mul_hi_u32 v9, s0, v4
	v_mul_lo_u32 v10, s1, v4
	v_mul_lo_u32 v11, s0, v4
	v_add_u32_e32 v8, v9, v8
	v_add_u32_e32 v8, v8, v10
	v_mul_lo_u32 v12, v4, v8
	v_mul_hi_u32 v13, v4, v11
	v_mul_hi_u32 v14, v4, v8
	;; [unrolled: 1-line block ×3, first 2 shown]
	v_mul_lo_u32 v11, v7, v11
	v_mul_hi_u32 v9, v7, v8
	v_add_co_u32_e32 v12, vcc, v13, v12
	v_addc_co_u32_e32 v13, vcc, 0, v14, vcc
	v_mul_lo_u32 v8, v7, v8
	v_add_co_u32_e32 v11, vcc, v12, v11
	v_addc_co_u32_e32 v10, vcc, v13, v10, vcc
	v_addc_co_u32_e32 v9, vcc, 0, v9, vcc
	v_add_co_u32_e32 v8, vcc, v10, v8
	v_addc_co_u32_e32 v9, vcc, 0, v9, vcc
	v_add_co_u32_e32 v4, vcc, v4, v8
	v_addc_co_u32_e32 v9, vcc, v7, v9, vcc
	v_mad_u64_u32 v[7:8], s[0:1], v5, v9, 0
	v_mul_hi_u32 v10, v5, v4
	v_add_co_u32_e32 v11, vcc, v10, v7
	v_addc_co_u32_e32 v12, vcc, 0, v8, vcc
	v_mad_u64_u32 v[7:8], s[0:1], v6, v4, 0
	v_mad_u64_u32 v[9:10], s[0:1], v6, v9, 0
	v_add_co_u32_e32 v4, vcc, v11, v7
	v_addc_co_u32_e32 v4, vcc, v12, v8, vcc
	v_addc_co_u32_e32 v7, vcc, 0, v10, vcc
	v_add_co_u32_e32 v4, vcc, v4, v9
	v_addc_co_u32_e32 v9, vcc, 0, v7, vcc
	v_mul_lo_u32 v10, s21, v4
	v_mul_lo_u32 v11, s20, v9
	v_mad_u64_u32 v[7:8], s[0:1], s20, v4, 0
	v_add3_u32 v8, v8, v11, v10
	v_sub_u32_e32 v10, v6, v8
	v_mov_b32_e32 v11, s21
	v_sub_co_u32_e32 v7, vcc, v5, v7
	v_subb_co_u32_e64 v10, s[0:1], v10, v11, vcc
	v_subrev_co_u32_e64 v11, s[0:1], s20, v7
	v_subbrev_co_u32_e64 v10, s[0:1], 0, v10, s[0:1]
	v_cmp_le_u32_e64 s[0:1], s21, v10
	v_cndmask_b32_e64 v12, 0, -1, s[0:1]
	v_cmp_le_u32_e64 s[0:1], s20, v11
	v_cndmask_b32_e64 v11, 0, -1, s[0:1]
	v_cmp_eq_u32_e64 s[0:1], s21, v10
	v_cndmask_b32_e64 v10, v12, v11, s[0:1]
	v_add_co_u32_e64 v11, s[0:1], 2, v4
	v_addc_co_u32_e64 v12, s[0:1], 0, v9, s[0:1]
	v_add_co_u32_e64 v13, s[0:1], 1, v4
	v_addc_co_u32_e64 v14, s[0:1], 0, v9, s[0:1]
	v_subb_co_u32_e32 v8, vcc, v6, v8, vcc
	v_cmp_ne_u32_e64 s[0:1], 0, v10
	v_cmp_le_u32_e32 vcc, s21, v8
	v_cndmask_b32_e64 v10, v14, v12, s[0:1]
	v_cndmask_b32_e64 v12, 0, -1, vcc
	v_cmp_le_u32_e32 vcc, s20, v7
	v_cndmask_b32_e64 v7, 0, -1, vcc
	v_cmp_eq_u32_e32 vcc, s21, v8
	v_cndmask_b32_e32 v7, v12, v7, vcc
	v_cmp_ne_u32_e32 vcc, 0, v7
	v_cndmask_b32_e64 v7, v13, v11, s[0:1]
	v_cndmask_b32_e32 v8, v9, v10, vcc
	v_cndmask_b32_e32 v7, v4, v7, vcc
.LBB0_4:                                ;   in Loop: Header=BB0_2 Depth=1
	s_andn2_saveexec_b64 s[0:1], s[22:23]
	s_cbranch_execz .LBB0_6
; %bb.5:                                ;   in Loop: Header=BB0_2 Depth=1
	v_cvt_f32_u32_e32 v4, s20
	s_sub_i32 s22, 0, s20
	v_rcp_iflag_f32_e32 v4, v4
	v_mul_f32_e32 v4, 0x4f7ffffe, v4
	v_cvt_u32_f32_e32 v4, v4
	v_mul_lo_u32 v7, s22, v4
	v_mul_hi_u32 v7, v4, v7
	v_add_u32_e32 v4, v4, v7
	v_mul_hi_u32 v4, v5, v4
	v_mul_lo_u32 v7, v4, s20
	v_add_u32_e32 v8, 1, v4
	v_sub_u32_e32 v7, v5, v7
	v_subrev_u32_e32 v9, s20, v7
	v_cmp_le_u32_e32 vcc, s20, v7
	v_cndmask_b32_e32 v7, v7, v9, vcc
	v_cndmask_b32_e32 v4, v4, v8, vcc
	v_add_u32_e32 v8, 1, v4
	v_cmp_le_u32_e32 vcc, s20, v7
	v_cndmask_b32_e32 v7, v4, v8, vcc
	v_mov_b32_e32 v8, v3
.LBB0_6:                                ;   in Loop: Header=BB0_2 Depth=1
	s_or_b64 exec, exec, s[0:1]
	v_mul_lo_u32 v4, v8, s20
	v_mul_lo_u32 v11, v7, s21
	v_mad_u64_u32 v[9:10], s[0:1], v7, s20, 0
	s_load_dwordx2 s[0:1], s[6:7], 0x0
	s_add_u32 s18, s18, 1
	v_add3_u32 v4, v10, v11, v4
	v_sub_co_u32_e32 v5, vcc, v5, v9
	v_subb_co_u32_e32 v4, vcc, v6, v4, vcc
	s_waitcnt lgkmcnt(0)
	v_mul_lo_u32 v4, s0, v4
	v_mul_lo_u32 v6, s1, v5
	v_mad_u64_u32 v[1:2], s[0:1], s0, v5, v[1:2]
	s_addc_u32 s19, s19, 0
	s_add_u32 s6, s6, 8
	v_add3_u32 v2, v6, v2, v4
	v_mov_b32_e32 v4, s10
	v_mov_b32_e32 v5, s11
	s_addc_u32 s7, s7, 0
	v_cmp_ge_u64_e32 vcc, s[18:19], v[4:5]
	s_add_u32 s16, s16, 8
	s_addc_u32 s17, s17, 0
	s_cbranch_vccnz .LBB0_9
; %bb.7:                                ;   in Loop: Header=BB0_2 Depth=1
	v_mov_b32_e32 v5, v7
	v_mov_b32_e32 v6, v8
	s_branch .LBB0_2
.LBB0_8:
	v_mov_b32_e32 v8, v6
	v_mov_b32_e32 v7, v5
.LBB0_9:
	s_lshl_b64 s[0:1], s[10:11], 3
	s_add_u32 s0, s2, s0
	s_addc_u32 s1, s3, s1
	s_load_dwordx2 s[2:3], s[0:1], 0x0
	s_load_dwordx2 s[6:7], s[4:5], 0x20
	v_mov_b32_e32 v10, 0
	v_mov_b32_e32 v9, 0
                                        ; implicit-def: $vgpr12
                                        ; implicit-def: $vgpr14
                                        ; implicit-def: $vgpr16
                                        ; implicit-def: $vgpr18
                                        ; implicit-def: $vgpr20
                                        ; implicit-def: $vgpr22
                                        ; implicit-def: $vgpr24
                                        ; implicit-def: $vgpr26
                                        ; implicit-def: $vgpr28
                                        ; implicit-def: $vgpr30
                                        ; implicit-def: $vgpr32
                                        ; implicit-def: $vgpr34
                                        ; implicit-def: $vgpr36
                                        ; implicit-def: $vgpr42
                                        ; implicit-def: $vgpr40
                                        ; implicit-def: $vgpr38
	s_waitcnt lgkmcnt(0)
	v_mad_u64_u32 v[1:2], s[0:1], s2, v7, v[1:2]
	s_mov_b32 s0, 0x1ac5702
	v_mul_lo_u32 v3, s2, v8
	v_mul_lo_u32 v4, s3, v7
	v_mul_hi_u32 v5, v0, s0
	v_cmp_gt_u64_e32 vcc, s[6:7], v[7:8]
	s_movk_i32 s0, 0x75
	v_add3_u32 v2, v4, v2, v3
	v_mul_u32_u24_e32 v3, 0x99, v5
	v_sub_u32_e32 v55, v0, v3
	v_cmp_gt_u32_e64 s[0:1], s0, v55
	v_lshlrev_b64 v[0:1], 3, v[1:2]
	s_and_b64 s[2:3], vcc, s[0:1]
	s_and_saveexec_b64 s[4:5], s[2:3]
	s_cbranch_execz .LBB0_11
; %bb.10:
	v_mad_u64_u32 v[2:3], s[2:3], s12, v55, 0
	v_add_u32_e32 v7, 0x75, v55
	v_mov_b32_e32 v6, s15
	v_mad_u64_u32 v[3:4], s[2:3], s13, v55, v[3:4]
	v_mad_u64_u32 v[4:5], s[2:3], s12, v7, 0
	v_add_co_u32_e64 v16, s[2:3], s14, v0
	v_addc_co_u32_e64 v17, s[2:3], v6, v1, s[2:3]
	v_mad_u64_u32 v[5:6], s[2:3], s13, v7, v[5:6]
	v_add_u32_e32 v8, 0xea, v55
	v_mad_u64_u32 v[6:7], s[2:3], s12, v8, 0
	v_lshlrev_b64 v[2:3], 3, v[2:3]
	v_add_u32_e32 v10, 0x15f, v55
	v_add_co_u32_e64 v2, s[2:3], v16, v2
	v_addc_co_u32_e64 v3, s[2:3], v17, v3, s[2:3]
	v_mad_u64_u32 v[7:8], s[2:3], s13, v8, v[7:8]
	v_mad_u64_u32 v[8:9], s[2:3], s12, v10, 0
	v_lshlrev_b64 v[4:5], 3, v[4:5]
	v_add_u32_e32 v12, 0x1d4, v55
	v_add_co_u32_e64 v4, s[2:3], v16, v4
	v_addc_co_u32_e64 v5, s[2:3], v17, v5, s[2:3]
	v_mad_u64_u32 v[9:10], s[2:3], s13, v10, v[9:10]
	;; [unrolled: 6-line block ×3, first 2 shown]
	v_mad_u64_u32 v[12:13], s[2:3], s12, v14, 0
	v_lshlrev_b64 v[8:9], 3, v[8:9]
	v_add_co_u32_e64 v39, s[2:3], v16, v8
	v_addc_co_u32_e64 v40, s[2:3], v17, v9, s[2:3]
	v_lshlrev_b64 v[8:9], 3, v[10:11]
	v_mov_b32_e32 v10, v13
	v_mad_u64_u32 v[10:11], s[2:3], s13, v14, v[10:11]
	v_add_u32_e32 v11, 0x2be, v55
	v_mad_u64_u32 v[14:15], s[2:3], s12, v11, 0
	v_add_co_u32_e64 v41, s[2:3], v16, v8
	v_mov_b32_e32 v13, v10
	v_mov_b32_e32 v10, v15
	v_addc_co_u32_e64 v42, s[2:3], v17, v9, s[2:3]
	v_lshlrev_b64 v[8:9], 3, v[12:13]
	v_mad_u64_u32 v[10:11], s[2:3], s13, v11, v[10:11]
	v_add_u32_e32 v13, 0x333, v55
	v_mad_u64_u32 v[11:12], s[2:3], s12, v13, 0
	v_add_co_u32_e64 v43, s[2:3], v16, v8
	v_mov_b32_e32 v15, v10
	v_mov_b32_e32 v10, v12
	v_addc_co_u32_e64 v44, s[2:3], v17, v9, s[2:3]
	v_lshlrev_b64 v[8:9], 3, v[14:15]
	v_mad_u64_u32 v[12:13], s[2:3], s13, v13, v[10:11]
	v_add_u32_e32 v15, 0x3a8, v55
	v_mad_u64_u32 v[13:14], s[2:3], s12, v15, 0
	v_add_co_u32_e64 v45, s[2:3], v16, v8
	v_mov_b32_e32 v10, v14
	v_addc_co_u32_e64 v46, s[2:3], v17, v9, s[2:3]
	v_lshlrev_b64 v[8:9], 3, v[11:12]
	v_mad_u64_u32 v[10:11], s[2:3], s13, v15, v[10:11]
	v_add_u32_e32 v15, 0x41d, v55
	v_mad_u64_u32 v[11:12], s[2:3], s12, v15, 0
	v_add_co_u32_e64 v47, s[2:3], v16, v8
	v_mov_b32_e32 v14, v10
	v_mov_b32_e32 v10, v12
	v_addc_co_u32_e64 v48, s[2:3], v17, v9, s[2:3]
	v_lshlrev_b64 v[8:9], 3, v[13:14]
	v_mad_u64_u32 v[12:13], s[2:3], s13, v15, v[10:11]
	v_add_u32_e32 v15, 0x492, v55
	v_mad_u64_u32 v[13:14], s[2:3], s12, v15, 0
	v_add_co_u32_e64 v49, s[2:3], v16, v8
	;; [unrolled: 15-line block ×5, first 2 shown]
	v_mov_b32_e32 v10, v14
	v_addc_co_u32_e64 v63, s[2:3], v17, v9, s[2:3]
	v_lshlrev_b64 v[8:9], 3, v[11:12]
	v_mad_u64_u32 v[10:11], s[2:3], s13, v15, v[10:11]
	v_add_co_u32_e64 v64, s[2:3], v16, v8
	v_mov_b32_e32 v14, v10
	v_addc_co_u32_e64 v65, s[2:3], v17, v9, s[2:3]
	v_lshlrev_b64 v[8:9], 3, v[13:14]
	v_add_co_u32_e64 v66, s[2:3], v16, v8
	v_addc_co_u32_e64 v67, s[2:3], v17, v9, s[2:3]
	global_load_dwordx2 v[9:10], v[2:3], off
	global_load_dwordx2 v[11:12], v[4:5], off
	;; [unrolled: 1-line block ×15, first 2 shown]
                                        ; kill: killed $vgpr58 killed $vgpr59
                                        ; kill: killed $vgpr47 killed $vgpr48
                                        ; kill: killed $vgpr6 killed $vgpr7
                                        ; kill: killed $vgpr62 killed $vgpr63
                                        ; kill: killed $vgpr51 killed $vgpr52
                                        ; kill: killed $vgpr41 killed $vgpr42
                                        ; kill: killed $vgpr56 killed $vgpr57
                                        ; kill: killed $vgpr45 killed $vgpr46
                                        ; kill: killed $vgpr4 killed $vgpr5
                                        ; kill: killed $vgpr60 killed $vgpr61
                                        ; kill: killed $vgpr49 killed $vgpr50
                                        ; kill: killed $vgpr39 killed $vgpr40
                                        ; kill: killed $vgpr53 killed $vgpr54
                                        ; kill: killed $vgpr43 killed $vgpr44
                                        ; kill: killed $vgpr2 killed $vgpr3
	global_load_dwordx2 v[39:40], v[64:65], off
	global_load_dwordx2 v[41:42], v[66:67], off
.LBB0_11:
	s_or_b64 exec, exec, s[4:5]
	s_waitcnt vmcnt(0)
	v_sub_f32_e32 v50, v12, v42
	v_add_f32_e32 v59, v11, v41
	s_mov_b32 s2, 0x3f6eb680
	v_mul_f32_e32 v6, 0xbeb8f4ab, v50
	v_sub_f32_e32 v53, v14, v40
	v_fma_f32 v2, v59, s2, -v6
	s_mov_b32 s3, 0x3f3d2fb0
	v_mul_f32_e32 v8, 0xbf2c7751, v50
	v_add_f32_e32 v62, v13, v39
	v_mul_f32_e32 v7, 0xbf2c7751, v53
	v_add_f32_e32 v2, v9, v2
	v_fma_f32 v3, v59, s3, -v8
	s_mov_b32 s4, 0x3dbcf732
	v_fma_f32 v4, v62, s3, -v7
	v_mul_f32_e32 v44, 0xbf7ee86f, v53
	v_sub_f32_e32 v57, v16, v38
	v_add_f32_e32 v3, v9, v3
	v_add_f32_e32 v2, v2, v4
	v_fma_f32 v4, v62, s4, -v44
	s_mov_b32 s5, 0x3ee437d1
	v_add_f32_e32 v64, v15, v37
	v_mul_f32_e32 v43, 0xbf65296c, v57
	v_add_f32_e32 v3, v3, v4
	v_fma_f32 v4, v64, s5, -v43
	s_mov_b32 s6, 0xbf1a4643
	v_mul_f32_e32 v46, 0xbf4c4adb, v57
	v_sub_f32_e32 v60, v18, v36
	v_add_f32_e32 v2, v2, v4
	v_fma_f32 v4, v64, s6, -v46
	v_add_f32_e32 v66, v17, v35
	v_mul_f32_e32 v45, 0xbf7ee86f, v60
	v_add_f32_e32 v3, v3, v4
	v_fma_f32 v4, v66, s4, -v45
	s_mov_b32 s7, 0xbf7ba420
	v_mul_f32_e32 v48, 0xbe3c28d5, v60
	v_sub_f32_e32 v63, v20, v34
	v_add_f32_e32 v2, v4, v2
	v_fma_f32 v4, v66, s7, -v48
	s_mov_b32 s10, 0xbe8c1d8e
	v_add_f32_e32 v71, v19, v33
	v_mul_f32_e32 v47, 0xbf763a35, v63
	v_add_f32_e32 v3, v4, v3
	v_fma_f32 v4, v71, s10, -v47
	s_mov_b32 s11, 0xbf59a7d5
	v_mul_f32_e32 v51, 0x3f06c442, v63
	v_sub_f32_e32 v65, v22, v32
	v_add_f32_e32 v2, v4, v2
	v_fma_f32 v4, v71, s11, -v51
	v_add_f32_e32 v76, v21, v31
	v_mul_f32_e32 v49, 0xbf4c4adb, v65
	v_add_f32_e32 v3, v4, v3
	v_fma_f32 v4, v76, s6, -v49
	v_mul_f32_e32 v54, 0x3f763a35, v65
	v_sub_f32_e32 v68, v24, v30
	v_add_f32_e32 v2, v4, v2
	v_fma_f32 v4, v76, s10, -v54
	v_add_f32_e32 v84, v23, v29
	v_mul_f32_e32 v52, 0xbf06c442, v68
	v_add_f32_e32 v3, v4, v3
	v_fma_f32 v4, v84, s11, -v52
	;; [unrolled: 8-line block ×3, first 2 shown]
	v_mul_f32_e32 v61, 0x3eb8f4ab, v72
	v_add_f32_e32 v3, v3, v2
	v_fma_f32 v2, v82, s2, -v61
	v_mul_f32_e32 v67, 0xbf65296c, v50
	v_add_f32_e32 v2, v2, v4
	v_fma_f32 v4, v59, s5, -v67
	;; [unrolled: 3-line block ×5, first 2 shown]
	v_add_f32_e32 v5, v5, v70
	v_mul_f32_e32 v70, 0x3e3c28d5, v57
	v_fma_f32 v73, v64, s7, -v70
	v_mul_f32_e32 v80, 0x3f763a35, v57
	v_add_f32_e32 v4, v4, v73
	v_fma_f32 v73, v64, s10, -v80
	v_add_f32_e32 v5, v5, v73
	v_mul_f32_e32 v73, 0x3f763a35, v60
	v_fma_f32 v74, v66, s10, -v73
	v_mul_f32_e32 v83, 0x3eb8f4ab, v60
	v_add_f32_e32 v4, v74, v4
	v_fma_f32 v74, v66, s2, -v83
	;; [unrolled: 6-line block ×6, first 2 shown]
	v_add_f32_e32 v4, v4, v89
	s_and_saveexec_b64 s[2:3], s[0:1]
	s_cbranch_execz .LBB0_13
; %bb.12:
	v_mul_f32_e32 v112, 0xbf7ba420, v59
	v_mov_b32_e32 v113, v112
	v_mul_f32_e32 v114, 0x3f6eb680, v62
	v_fmac_f32_e32 v113, 0x3e3c28d5, v50
	v_mov_b32_e32 v115, v114
	v_add_f32_e32 v113, v9, v113
	v_fmac_f32_e32 v115, 0xbeb8f4ab, v53
	v_add_f32_e32 v113, v113, v115
	v_mul_f32_e32 v115, 0xbf59a7d5, v64
	v_mov_b32_e32 v116, v115
	v_fmac_f32_e32 v116, 0x3f06c442, v57
	v_add_f32_e32 v113, v113, v116
	v_mul_f32_e32 v116, 0x3f3d2fb0, v66
	v_fmac_f32_e32 v112, 0xbe3c28d5, v50
	v_mov_b32_e32 v117, v116
	v_add_f32_e32 v112, v9, v112
	v_fmac_f32_e32 v114, 0x3eb8f4ab, v53
	v_fmac_f32_e32 v117, 0xbf2c7751, v60
	v_add_f32_e32 v112, v112, v114
	v_fmac_f32_e32 v115, 0xbf06c442, v57
	v_add_f32_e32 v113, v117, v113
	v_mul_f32_e32 v117, 0xbf1a4643, v71
	v_add_f32_e32 v112, v112, v115
	v_fmac_f32_e32 v116, 0x3f2c7751, v60
	v_mul_f32_e32 v114, 0xbf59a7d5, v59
	v_mov_b32_e32 v118, v117
	v_add_f32_e32 v112, v116, v112
	v_fmac_f32_e32 v117, 0xbf4c4adb, v63
	v_mov_b32_e32 v115, v114
	v_mul_f32_e32 v116, 0x3ee437d1, v62
	v_fmac_f32_e32 v118, 0x3f4c4adb, v63
	v_add_f32_e32 v112, v117, v112
	v_fmac_f32_e32 v115, 0x3f06c442, v50
	v_mov_b32_e32 v117, v116
	v_add_f32_e32 v113, v118, v113
	v_mul_f32_e32 v118, 0x3ee437d1, v76
	v_add_f32_e32 v115, v9, v115
	v_fmac_f32_e32 v117, 0xbf65296c, v53
	v_mov_b32_e32 v119, v118
	v_fmac_f32_e32 v118, 0x3f65296c, v65
	v_add_f32_e32 v115, v115, v117
	v_mul_f32_e32 v117, 0x3dbcf732, v64
	v_fmac_f32_e32 v119, 0xbf65296c, v65
	v_add_f32_e32 v112, v118, v112
	v_mov_b32_e32 v118, v117
	v_add_f32_e32 v113, v119, v113
	v_mul_f32_e32 v119, 0xbe8c1d8e, v84
	v_fmac_f32_e32 v118, 0x3f7ee86f, v57
	v_mov_b32_e32 v120, v119
	v_fmac_f32_e32 v119, 0xbf763a35, v68
	v_add_f32_e32 v115, v115, v118
	v_mul_f32_e32 v118, 0xbf1a4643, v66
	v_fmac_f32_e32 v114, 0xbf06c442, v50
	v_fmac_f32_e32 v120, 0x3f763a35, v68
	v_add_f32_e32 v112, v119, v112
	v_mov_b32_e32 v119, v118
	v_add_f32_e32 v114, v9, v114
	v_fmac_f32_e32 v116, 0x3f65296c, v53
	v_add_f32_e32 v113, v120, v113
	v_mul_f32_e32 v120, 0x3dbcf732, v82
	v_fmac_f32_e32 v119, 0xbf4c4adb, v60
	v_add_f32_e32 v114, v114, v116
	v_fmac_f32_e32 v117, 0xbf7ee86f, v57
	v_mov_b32_e32 v121, v120
	v_fmac_f32_e32 v120, 0x3f7ee86f, v72
	v_add_f32_e32 v115, v119, v115
	v_mul_f32_e32 v119, 0x3f6eb680, v71
	v_add_f32_e32 v114, v114, v117
	v_fmac_f32_e32 v118, 0x3f4c4adb, v60
	v_mul_f32_e32 v116, 0xbf1a4643, v59
	v_add_f32_e32 v112, v120, v112
	v_mov_b32_e32 v120, v119
	v_add_f32_e32 v114, v118, v114
	v_fmac_f32_e32 v119, 0xbeb8f4ab, v63
	v_mov_b32_e32 v117, v116
	v_mul_f32_e32 v118, 0xbe8c1d8e, v62
	v_fmac_f32_e32 v120, 0x3eb8f4ab, v63
	v_add_f32_e32 v114, v119, v114
	v_fmac_f32_e32 v117, 0x3f4c4adb, v50
	v_mov_b32_e32 v119, v118
	v_fmac_f32_e32 v121, 0xbf7ee86f, v72
	v_add_f32_e32 v115, v120, v115
	v_mul_f32_e32 v120, 0xbf7ba420, v76
	v_add_f32_e32 v117, v9, v117
	v_fmac_f32_e32 v119, 0xbf763a35, v53
	v_add_f32_e32 v113, v121, v113
	v_mov_b32_e32 v121, v120
	v_fmac_f32_e32 v120, 0xbe3c28d5, v65
	v_add_f32_e32 v117, v117, v119
	v_mul_f32_e32 v119, 0x3f6eb680, v64
	v_fmac_f32_e32 v121, 0x3e3c28d5, v65
	v_add_f32_e32 v114, v120, v114
	v_mov_b32_e32 v120, v119
	v_add_f32_e32 v115, v121, v115
	v_mul_f32_e32 v121, 0x3f3d2fb0, v84
	v_fmac_f32_e32 v120, 0x3eb8f4ab, v57
	v_mov_b32_e32 v122, v121
	v_fmac_f32_e32 v121, 0x3f2c7751, v68
	v_add_f32_e32 v117, v117, v120
	v_mul_f32_e32 v120, 0xbf59a7d5, v66
	v_fmac_f32_e32 v122, 0xbf2c7751, v68
	v_add_f32_e32 v114, v121, v114
	v_mov_b32_e32 v121, v120
	v_add_f32_e32 v115, v122, v115
	v_mul_f32_e32 v122, 0xbe8c1d8e, v82
	v_fmac_f32_e32 v121, 0x3f06c442, v60
	v_mov_b32_e32 v123, v122
	v_fmac_f32_e32 v122, 0xbf763a35, v72
	v_add_f32_e32 v117, v121, v117
	v_mul_f32_e32 v121, 0x3dbcf732, v71
	v_add_f32_e32 v114, v122, v114
	v_mov_b32_e32 v122, v121
	v_fmac_f32_e32 v116, 0xbf4c4adb, v50
	v_fmac_f32_e32 v122, 0xbf7ee86f, v63
	v_add_f32_e32 v116, v9, v116
	v_fmac_f32_e32 v118, 0x3f763a35, v53
	v_fmac_f32_e32 v123, 0x3f763a35, v72
	v_add_f32_e32 v117, v122, v117
	v_mul_f32_e32 v122, 0x3f3d2fb0, v76
	v_add_f32_e32 v116, v116, v118
	v_fmac_f32_e32 v119, 0xbeb8f4ab, v57
	v_add_f32_e32 v115, v123, v115
	v_mov_b32_e32 v123, v122
	v_add_f32_e32 v116, v116, v119
	v_fmac_f32_e32 v120, 0xbf06c442, v60
	v_fmac_f32_e32 v123, 0x3f2c7751, v65
	v_add_f32_e32 v116, v120, v116
	v_fmac_f32_e32 v121, 0x3f7ee86f, v63
	v_mul_f32_e32 v89, 0x3f6eb680, v59
	v_mul_f32_e32 v90, 0x3f3d2fb0, v59
	v_mul_f32_e32 v91, 0x3ee437d1, v59
	v_mul_f32_e32 v92, 0x3dbcf732, v59
	v_add_f32_e32 v117, v123, v117
	v_mul_f32_e32 v123, 0xbf7ba420, v84
	v_add_f32_e32 v116, v121, v116
	v_fmac_f32_e32 v122, 0xbf2c7751, v65
	v_mul_f32_e32 v59, 0xbe8c1d8e, v59
	v_mul_f32_e32 v93, 0x3f3d2fb0, v62
	;; [unrolled: 1-line block ×5, first 2 shown]
	v_mov_b32_e32 v124, v123
	v_add_f32_e32 v116, v122, v116
	v_fmac_f32_e32 v123, 0xbe3c28d5, v68
	v_mov_b32_e32 v122, v59
	v_mul_f32_e32 v62, 0xbf59a7d5, v62
	v_add_f32_e32 v116, v123, v116
	v_fmac_f32_e32 v122, 0x3f763a35, v50
	v_mov_b32_e32 v123, v62
	v_mul_f32_e32 v97, 0x3ee437d1, v64
	v_mul_f32_e32 v98, 0xbf1a4643, v64
	;; [unrolled: 1-line block ×4, first 2 shown]
	v_add_f32_e32 v122, v9, v122
	v_fmac_f32_e32 v123, 0xbf06c442, v53
	v_mul_f32_e32 v64, 0x3f3d2fb0, v64
	v_add_f32_e32 v122, v122, v123
	v_mov_b32_e32 v123, v64
	v_mul_f32_e32 v101, 0x3dbcf732, v66
	v_mul_f32_e32 v102, 0xbf7ba420, v66
	v_mul_f32_e32 v103, 0xbe8c1d8e, v66
	v_mul_f32_e32 v104, 0x3f6eb680, v66
	v_fmac_f32_e32 v124, 0x3e3c28d5, v68
	v_fmac_f32_e32 v123, 0xbf2c7751, v57
	v_mul_f32_e32 v66, 0x3ee437d1, v66
	v_add_f32_e32 v117, v124, v117
	v_mul_f32_e32 v124, 0x3ee437d1, v82
	v_add_f32_e32 v122, v122, v123
	v_mov_b32_e32 v123, v66
	v_mul_f32_e32 v105, 0xbe8c1d8e, v71
	v_mul_f32_e32 v106, 0xbf59a7d5, v71
	;; [unrolled: 1-line block ×4, first 2 shown]
	v_mov_b32_e32 v125, v124
	v_fmac_f32_e32 v123, 0x3f65296c, v60
	v_mul_f32_e32 v71, 0xbf7ba420, v71
	v_fmac_f32_e32 v125, 0xbf65296c, v72
	v_add_f32_e32 v122, v123, v122
	v_mov_b32_e32 v123, v71
	v_mul_f32_e32 v109, 0xbf1a4643, v76
	v_mul_f32_e32 v110, 0xbe8c1d8e, v76
	v_mul_f32_e32 v111, 0x3f6eb680, v76
	v_add_f32_e32 v117, v125, v117
	v_mul_f32_e32 v125, 0xbf59a7d5, v76
	v_fmac_f32_e32 v123, 0x3e3c28d5, v63
	v_mul_f32_e32 v76, 0x3dbcf732, v76
	v_add_f32_e32 v122, v123, v122
	v_mov_b32_e32 v123, v76
	v_mul_f32_e32 v118, 0xbf59a7d5, v84
	v_mul_f32_e32 v119, 0x3ee437d1, v84
	;; [unrolled: 1-line block ×4, first 2 shown]
	v_fmac_f32_e32 v123, 0xbf7ee86f, v65
	v_mul_f32_e32 v84, 0x3f6eb680, v84
	v_add_f32_e32 v6, v6, v89
	v_add_f32_e32 v122, v123, v122
	v_mov_b32_e32 v123, v84
	v_add_f32_e32 v6, v9, v6
	v_add_f32_e32 v7, v7, v93
	v_fmac_f32_e32 v123, 0x3eb8f4ab, v68
	v_add_f32_e32 v6, v6, v7
	v_add_f32_e32 v7, v43, v97
	v_fmac_f32_e32 v124, 0x3f65296c, v72
	v_add_f32_e32 v122, v123, v122
	v_mul_f32_e32 v123, 0xbf1a4643, v82
	v_add_f32_e32 v6, v6, v7
	v_add_f32_e32 v7, v45, v101
	;; [unrolled: 1-line block ×3, first 2 shown]
	v_mov_b32_e32 v124, v123
	v_add_f32_e32 v6, v7, v6
	v_add_f32_e32 v7, v47, v105
	v_fmac_f32_e32 v124, 0x3f4c4adb, v72
	v_fmac_f32_e32 v59, 0xbf763a35, v50
	v_add_f32_e32 v6, v7, v6
	v_add_f32_e32 v7, v49, v109
	;; [unrolled: 1-line block ×3, first 2 shown]
	v_mul_f32_e32 v124, 0xbf7ba420, v82
	v_fmac_f32_e32 v62, 0x3f06c442, v53
	v_add_f32_e32 v59, v9, v59
	v_add_f32_e32 v6, v7, v6
	;; [unrolled: 1-line block ×4, first 2 shown]
	v_fmac_f32_e32 v64, 0x3f2c7751, v57
	v_add_f32_e32 v6, v7, v6
	v_add_f32_e32 v7, v56, v124
	;; [unrolled: 1-line block ×6, first 2 shown]
	v_fmac_f32_e32 v66, 0xbf65296c, v60
	v_add_f32_e32 v59, v9, v59
	v_add_f32_e32 v60, v78, v96
	;; [unrolled: 1-line block ×15, first 2 shown]
	v_mul_f32_e32 v50, 0x3f6eb680, v82
	v_mul_f32_e32 v53, 0xbf59a7d5, v82
	;; [unrolled: 1-line block ×3, first 2 shown]
	v_add_f32_e32 v59, v60, v59
	v_add_f32_e32 v60, v87, v121
	;; [unrolled: 1-line block ×26, first 2 shown]
	v_fmac_f32_e32 v71, 0xbe3c28d5, v63
	v_add_f32_e32 v60, v62, v60
	v_add_f32_e32 v62, v74, v107
	v_add_f32_e32 v8, v44, v8
	v_add_f32_e32 v44, v51, v106
	v_add_f32_e32 v7, v7, v35
	v_add_f32_e32 v57, v71, v57
	v_fmac_f32_e32 v76, 0x3f7ee86f, v65
	v_add_f32_e32 v60, v62, v60
	v_add_f32_e32 v62, v75, v111
	;; [unrolled: 1-line block ×6, first 2 shown]
	v_fmac_f32_e32 v84, 0xbeb8f4ab, v68
	v_add_f32_e32 v60, v62, v60
	v_add_f32_e32 v62, v79, v120
	;; [unrolled: 1-line block ×5, first 2 shown]
	s_movk_i32 s4, 0x44
	v_add_f32_e32 v57, v84, v57
	v_fmac_f32_e32 v123, 0xbf4c4adb, v72
	v_add_f32_e32 v60, v62, v60
	v_add_f32_e32 v53, v81, v53
	v_add_f32_e32 v8, v44, v8
	v_add_f32_e32 v44, v61, v50
	v_add_f32_e32 v7, v41, v7
	v_mad_u32_u24 v9, v55, s4, 0
	v_add_f32_e32 v57, v123, v57
	v_add_f32_e32 v53, v53, v60
	;; [unrolled: 1-line block ×3, first 2 shown]
	ds_write2_b32 v9, v7, v6 offset1:1
	ds_write2_b32 v9, v8, v53 offset0:2 offset1:3
	ds_write2_b32 v9, v59, v57 offset0:4 offset1:5
	;; [unrolled: 1-line block ×7, first 2 shown]
	ds_write_b32 v9, v3 offset:64
.LBB0_13:
	s_or_b64 exec, exec, s[2:3]
	v_sub_f32_e32 v84, v11, v41
	v_mul_f32_e32 v91, 0xbeb8f4ab, v84
	v_sub_f32_e32 v78, v13, v39
	v_add_f32_e32 v81, v12, v42
	v_mov_b32_e32 v6, v91
	v_mul_f32_e32 v87, 0xbf2c7751, v78
	v_fmac_f32_e32 v6, 0x3f6eb680, v81
	v_mul_f32_e32 v92, 0xbf2c7751, v84
	v_add_f32_e32 v75, v14, v40
	v_mov_b32_e32 v11, v87
	v_add_f32_e32 v6, v10, v6
	v_mov_b32_e32 v7, v92
	v_fmac_f32_e32 v11, 0x3f3d2fb0, v75
	v_mul_f32_e32 v88, 0xbf7ee86f, v78
	v_fmac_f32_e32 v7, 0x3f3d2fb0, v81
	v_mul_f32_e32 v93, 0xbf65296c, v84
	v_add_f32_e32 v6, v6, v11
	v_mov_b32_e32 v11, v88
	v_add_f32_e32 v7, v10, v7
	v_mov_b32_e32 v8, v93
	v_fmac_f32_e32 v11, 0x3dbcf732, v75
	;; [unrolled: 8-line block ×3, first 2 shown]
	v_mul_f32_e32 v90, 0xbe3c28d5, v78
	v_fmac_f32_e32 v9, 0x3dbcf732, v81
	v_add_f32_e32 v8, v8, v11
	v_mov_b32_e32 v11, v90
	v_sub_f32_e32 v71, v15, v37
	v_add_f32_e32 v9, v10, v9
	v_fmac_f32_e32 v11, 0xbf7ba420, v75
	v_mul_f32_e32 v82, 0xbf65296c, v71
	v_add_f32_e32 v9, v9, v11
	v_add_f32_e32 v69, v16, v38
	v_mov_b32_e32 v11, v82
	v_fmac_f32_e32 v11, 0x3ee437d1, v69
	v_mul_f32_e32 v83, 0xbf4c4adb, v71
	v_add_f32_e32 v6, v6, v11
	v_mov_b32_e32 v11, v83
	v_fmac_f32_e32 v11, 0xbf1a4643, v69
	v_mul_f32_e32 v85, 0x3e3c28d5, v71
	v_add_f32_e32 v7, v7, v11
	v_mov_b32_e32 v11, v85
	v_fmac_f32_e32 v11, 0xbf7ba420, v69
	v_mul_f32_e32 v86, 0x3f763a35, v71
	v_add_f32_e32 v8, v8, v11
	v_mov_b32_e32 v11, v86
	v_sub_f32_e32 v65, v17, v35
	v_fmac_f32_e32 v11, 0xbe8c1d8e, v69
	v_mul_f32_e32 v76, 0xbf7ee86f, v65
	v_add_f32_e32 v9, v9, v11
	v_add_f32_e32 v63, v18, v36
	v_mov_b32_e32 v11, v76
	v_fmac_f32_e32 v11, 0x3dbcf732, v63
	v_mul_f32_e32 v77, 0xbe3c28d5, v65
	v_add_f32_e32 v6, v11, v6
	v_mov_b32_e32 v11, v77
	v_fmac_f32_e32 v11, 0xbf7ba420, v63
	v_mul_f32_e32 v79, 0x3f763a35, v65
	v_add_f32_e32 v7, v11, v7
	v_mov_b32_e32 v11, v79
	v_fmac_f32_e32 v11, 0xbe8c1d8e, v63
	v_mul_f32_e32 v80, 0x3eb8f4ab, v65
	v_add_f32_e32 v8, v11, v8
	v_mov_b32_e32 v11, v80
	v_sub_f32_e32 v59, v19, v33
	;; [unrolled: 18-line block ×5, first 2 shown]
	v_fmac_f32_e32 v7, 0xbf1a4643, v31
	v_mul_f32_e32 v35, 0xbe3c28d5, v25
	v_add_f32_e32 v95, v7, v9
	v_add_f32_e32 v15, v26, v28
	v_mov_b32_e32 v7, v35
	v_fmac_f32_e32 v7, 0xbf7ba420, v15
	v_mul_f32_e32 v39, 0x3eb8f4ab, v25
	v_add_f32_e32 v7, v7, v6
	v_mov_b32_e32 v6, v39
	v_lshl_add_u32 v27, v55, 2, 0
	v_fmac_f32_e32 v6, 0x3f6eb680, v15
	v_mul_f32_e32 v41, 0xbf06c442, v25
	v_add_u32_e32 v13, 0x400, v27
	v_add_u32_e32 v17, 0x800, v27
	;; [unrolled: 1-line block ×5, first 2 shown]
	v_add_f32_e32 v6, v6, v11
	v_mov_b32_e32 v9, v41
	s_waitcnt lgkmcnt(0)
	s_barrier
	ds_read2_b32 v[43:44], v27 offset1:153
	ds_read2_b32 v[53:54], v13 offset0:50 offset1:203
	ds_read2_b32 v[51:52], v17 offset0:100 offset1:253
	;; [unrolled: 1-line block ×5, first 2 shown]
	ds_read_b32 v11, v27 offset:7344
	v_fmac_f32_e32 v9, 0xbf59a7d5, v15
	v_mul_f32_e32 v56, 0x3f2c7751, v25
	v_add_f32_e32 v9, v9, v8
	v_mov_b32_e32 v8, v56
	v_fmac_f32_e32 v8, 0x3f3d2fb0, v15
	v_add_f32_e32 v8, v8, v95
	s_waitcnt lgkmcnt(0)
	s_barrier
	s_and_saveexec_b64 s[2:3], s[0:1]
	s_cbranch_execz .LBB0_15
; %bb.14:
	v_add_f32_e32 v12, v10, v12
	v_add_f32_e32 v12, v12, v14
	;; [unrolled: 1-line block ×11, first 2 shown]
	v_mul_f32_e32 v95, 0x3f6eb680, v81
	v_mul_f32_e32 v96, 0x3f3d2fb0, v81
	v_mul_f32_e32 v97, 0x3ee437d1, v81
	v_mul_f32_e32 v98, 0x3dbcf732, v81
	v_add_f32_e32 v12, v12, v34
	v_mul_f32_e32 v22, 0xbf763a35, v84
	s_mov_b32 s0, 0xbe8c1d8e
	v_mul_f32_e32 v26, 0xbf4c4adb, v84
	s_mov_b32 s1, 0xbf1a4643
	;; [unrolled: 2-line block ×4, first 2 shown]
	v_mul_f32_e32 v99, 0x3f3d2fb0, v75
	v_add_f32_e32 v12, v12, v36
	v_sub_f32_e32 v14, v95, v91
	v_sub_f32_e32 v16, v96, v92
	;; [unrolled: 1-line block ×4, first 2 shown]
	v_fma_f32 v24, v81, s0, -v22
	v_fmac_f32_e32 v22, 0xbe8c1d8e, v81
	v_fma_f32 v28, v81, s1, -v26
	v_fmac_f32_e32 v26, 0xbf1a4643, v81
	;; [unrolled: 2-line block ×4, first 2 shown]
	v_mul_f32_e32 v100, 0x3dbcf732, v75
	v_add_f32_e32 v14, v10, v14
	v_add_f32_e32 v16, v10, v16
	;; [unrolled: 1-line block ×12, first 2 shown]
	v_sub_f32_e32 v34, v99, v87
	v_mul_f32_e32 v101, 0xbf1a4643, v75
	v_add_f32_e32 v14, v14, v34
	v_sub_f32_e32 v34, v100, v88
	v_mul_f32_e32 v102, 0xbf7ba420, v75
	v_add_f32_e32 v16, v16, v34
	v_sub_f32_e32 v34, v101, v89
	v_add_f32_e32 v18, v18, v34
	v_sub_f32_e32 v34, v102, v90
	v_add_f32_e32 v20, v20, v34
	v_mul_f32_e32 v34, 0x3f06c442, v78
	v_add_f32_e32 v12, v12, v38
	v_fma_f32 v38, v75, s4, -v34
	v_fmac_f32_e32 v34, 0xbf59a7d5, v75
	v_add_f32_e32 v22, v22, v34
	v_mul_f32_e32 v34, 0x3f763a35, v78
	v_add_f32_e32 v24, v24, v38
	v_fma_f32 v38, v75, s0, -v34
	v_fmac_f32_e32 v34, 0xbe8c1d8e, v75
	v_add_f32_e32 v26, v26, v34
	v_mul_f32_e32 v34, 0x3f65296c, v78
	s_mov_b32 s6, 0x3ee437d1
	v_add_f32_e32 v28, v28, v38
	v_fma_f32 v38, v75, s6, -v34
	v_fmac_f32_e32 v34, 0x3ee437d1, v75
	v_add_f32_e32 v30, v30, v34
	v_mul_f32_e32 v34, 0x3eb8f4ab, v78
	s_mov_b32 s7, 0x3f6eb680
	v_mul_f32_e32 v103, 0x3ee437d1, v69
	v_add_f32_e32 v32, v32, v38
	v_fma_f32 v38, v75, s7, -v34
	v_fmac_f32_e32 v34, 0x3f6eb680, v75
	v_mul_f32_e32 v104, 0xbf1a4643, v69
	v_add_f32_e32 v10, v10, v34
	v_sub_f32_e32 v34, v103, v82
	v_mul_f32_e32 v105, 0xbf7ba420, v69
	v_add_f32_e32 v14, v14, v34
	v_sub_f32_e32 v34, v104, v83
	;; [unrolled: 3-line block ×3, first 2 shown]
	v_add_f32_e32 v18, v18, v34
	v_sub_f32_e32 v34, v106, v86
	v_add_f32_e32 v20, v20, v34
	v_mul_f32_e32 v34, 0x3f2c7751, v71
	s_mov_b32 s10, 0x3f3d2fb0
	v_add_f32_e32 v36, v36, v38
	v_fma_f32 v38, v69, s10, -v34
	v_fmac_f32_e32 v34, 0x3f3d2fb0, v69
	v_add_f32_e32 v22, v22, v34
	v_mul_f32_e32 v34, 0xbeb8f4ab, v71
	v_add_f32_e32 v24, v24, v38
	v_fma_f32 v38, v69, s7, -v34
	v_fmac_f32_e32 v34, 0x3f6eb680, v69
	v_add_f32_e32 v26, v26, v34
	v_mul_f32_e32 v34, 0xbf7ee86f, v71
	s_mov_b32 s11, 0x3dbcf732
	v_add_f32_e32 v28, v28, v38
	v_fma_f32 v38, v69, s11, -v34
	v_fmac_f32_e32 v34, 0x3dbcf732, v69
	v_add_f32_e32 v30, v30, v34
	v_mul_f32_e32 v34, 0xbf06c442, v71
	v_mul_f32_e32 v107, 0x3dbcf732, v63
	v_add_f32_e32 v32, v32, v38
	v_fma_f32 v38, v69, s4, -v34
	v_fmac_f32_e32 v34, 0xbf59a7d5, v69
	v_mul_f32_e32 v108, 0xbf7ba420, v63
	v_add_f32_e32 v10, v10, v34
	v_sub_f32_e32 v34, v107, v76
	v_mul_f32_e32 v109, 0xbe8c1d8e, v63
	v_add_f32_e32 v14, v34, v14
	v_sub_f32_e32 v34, v108, v77
	v_mul_f32_e32 v110, 0x3f6eb680, v63
	v_add_f32_e32 v16, v34, v16
	v_sub_f32_e32 v34, v109, v79
	v_add_f32_e32 v18, v34, v18
	v_sub_f32_e32 v34, v110, v80
	v_add_f32_e32 v20, v34, v20
	v_mul_f32_e32 v34, 0xbf65296c, v65
	v_add_f32_e32 v36, v36, v38
	v_fma_f32 v38, v63, s6, -v34
	v_fmac_f32_e32 v34, 0x3ee437d1, v63
	v_add_f32_e32 v22, v34, v22
	v_mul_f32_e32 v34, 0xbf06c442, v65
	v_add_f32_e32 v24, v38, v24
	v_fma_f32 v38, v63, s4, -v34
	v_fmac_f32_e32 v34, 0xbf59a7d5, v63
	v_add_f32_e32 v26, v34, v26
	v_mul_f32_e32 v34, 0x3f4c4adb, v65
	v_add_f32_e32 v28, v38, v28
	v_fma_f32 v38, v63, s1, -v34
	v_fmac_f32_e32 v34, 0xbf1a4643, v63
	v_add_f32_e32 v30, v34, v30
	v_mul_f32_e32 v34, 0x3f2c7751, v65
	v_mul_f32_e32 v111, 0xbe8c1d8e, v57
	v_add_f32_e32 v32, v38, v32
	v_fma_f32 v38, v63, s10, -v34
	v_fmac_f32_e32 v34, 0x3f3d2fb0, v63
	v_mul_f32_e32 v112, 0xbf59a7d5, v57
	v_add_f32_e32 v10, v34, v10
	v_sub_f32_e32 v34, v111, v70
	v_mul_f32_e32 v113, 0x3f3d2fb0, v57
	v_add_f32_e32 v14, v34, v14
	v_sub_f32_e32 v34, v112, v72
	v_mul_f32_e32 v114, 0x3ee437d1, v57
	v_add_f32_e32 v16, v34, v16
	v_sub_f32_e32 v34, v113, v73
	v_add_f32_e32 v18, v34, v18
	v_sub_f32_e32 v34, v114, v74
	v_add_f32_e32 v20, v34, v20
	v_mul_f32_e32 v34, 0xbe3c28d5, v59
	v_add_f32_e32 v36, v38, v36
	v_fma_f32 v38, v57, s5, -v34
	v_fmac_f32_e32 v34, 0xbf7ba420, v57
	v_add_f32_e32 v22, v34, v22
	v_mul_f32_e32 v34, 0x3f7ee86f, v59
	v_add_f32_e32 v24, v38, v24
	v_fma_f32 v38, v57, s11, -v34
	v_fmac_f32_e32 v34, 0x3dbcf732, v57
	v_add_f32_e32 v26, v34, v26
	v_mul_f32_e32 v34, 0xbeb8f4ab, v59
	;; [unrolled: 32-line block ×3, first 2 shown]
	v_add_f32_e32 v28, v38, v28
	v_fma_f32 v38, v33, s5, -v34
	v_fmac_f32_e32 v34, 0xbf7ba420, v33
	v_mul_f32_e32 v119, 0xbf59a7d5, v31
	v_add_f32_e32 v30, v34, v30
	v_mul_f32_e32 v34, 0x3f65296c, v37
	v_mul_f32_e32 v120, 0x3ee437d1, v31
	v_fma_f32 v37, v33, s6, -v34
	v_fmac_f32_e32 v34, 0x3ee437d1, v33
	v_sub_f32_e32 v33, v119, v58
	v_mul_f32_e32 v121, 0x3dbcf732, v31
	v_add_f32_e32 v14, v33, v14
	v_sub_f32_e32 v33, v120, v60
	v_mul_f32_e32 v122, 0xbf1a4643, v31
	v_add_f32_e32 v16, v33, v16
	v_sub_f32_e32 v33, v121, v61
	v_add_f32_e32 v18, v33, v18
	v_sub_f32_e32 v33, v122, v62
	v_add_f32_e32 v20, v33, v20
	v_mul_f32_e32 v33, 0xbeb8f4ab, v29
	v_add_f32_e32 v10, v34, v10
	v_fma_f32 v34, v31, s7, -v33
	v_fmac_f32_e32 v33, 0x3f6eb680, v31
	v_add_f32_e32 v22, v33, v22
	v_mul_f32_e32 v33, 0xbe3c28d5, v29
	v_add_f32_e32 v24, v34, v24
	v_fma_f32 v34, v31, s5, -v33
	v_fmac_f32_e32 v33, 0xbf7ba420, v31
	;; [unrolled: 5-line block ×3, first 2 shown]
	v_mul_f32_e32 v29, 0xbf763a35, v29
	v_mul_f32_e32 v123, 0xbf7ba420, v15
	v_add_f32_e32 v30, v33, v30
	v_fma_f32 v33, v31, s0, -v29
	v_fmac_f32_e32 v29, 0xbe8c1d8e, v31
	v_mul_f32_e32 v124, 0x3f6eb680, v15
	v_add_f32_e32 v10, v29, v10
	v_sub_f32_e32 v29, v123, v35
	v_mul_f32_e32 v125, 0xbf59a7d5, v15
	v_add_f32_e32 v14, v29, v14
	v_sub_f32_e32 v29, v124, v39
	;; [unrolled: 3-line block ×3, first 2 shown]
	v_add_f32_e32 v18, v29, v18
	v_sub_f32_e32 v29, v126, v56
	v_add_f32_e32 v20, v29, v20
	v_mul_f32_e32 v29, 0xbf4c4adb, v25
	v_fma_f32 v31, v15, s1, -v29
	v_fmac_f32_e32 v29, 0xbf1a4643, v15
	v_add_f32_e32 v22, v29, v22
	v_mul_f32_e32 v29, 0x3f65296c, v25
	v_add_f32_e32 v24, v31, v24
	v_fma_f32 v31, v15, s6, -v29
	v_fmac_f32_e32 v29, 0x3ee437d1, v15
	v_add_f32_e32 v26, v29, v26
	v_mul_f32_e32 v29, 0xbf763a35, v25
	v_add_f32_e32 v12, v40, v12
	v_add_f32_e32 v32, v38, v32
	;; [unrolled: 1-line block ×4, first 2 shown]
	v_fma_f32 v31, v15, s0, -v29
	v_fmac_f32_e32 v29, 0xbe8c1d8e, v15
	v_mul_f32_e32 v25, 0x3f7ee86f, v25
	v_add_f32_e32 v12, v42, v12
	v_add_f32_e32 v32, v34, v32
	;; [unrolled: 1-line block ×4, first 2 shown]
	v_fma_f32 v30, v15, s11, -v25
	v_fmac_f32_e32 v25, 0x3dbcf732, v15
	v_lshl_add_u32 v15, v55, 6, v27
	v_add_f32_e32 v31, v31, v32
	v_add_f32_e32 v30, v30, v33
	;; [unrolled: 1-line block ×3, first 2 shown]
	ds_write2_b32 v15, v12, v14 offset1:1
	ds_write2_b32 v15, v16, v18 offset0:2 offset1:3
	ds_write2_b32 v15, v20, v24 offset0:4 offset1:5
	;; [unrolled: 1-line block ×7, first 2 shown]
	ds_write_b32 v15, v7 offset:64
.LBB0_15:
	s_or_b64 exec, exec, s[2:3]
	s_movk_i32 s0, 0xf1
	v_mul_lo_u16_sdwa v10, v55, s0 dst_sel:DWORD dst_unused:UNUSED_PAD src0_sel:BYTE_0 src1_sel:DWORD
	v_lshrrev_b16_e32 v38, 12, v10
	v_mul_lo_u16_e32 v10, 17, v38
	v_sub_u16_e32 v80, v55, v10
	v_mov_b32_e32 v10, 12
	v_mul_u32_u24_sdwa v10, v80, v10 dst_sel:DWORD dst_unused:UNUSED_PAD src0_sel:BYTE_0 src1_sel:DWORD
	v_lshlrev_b32_e32 v10, 3, v10
	s_waitcnt lgkmcnt(0)
	s_barrier
	global_load_dwordx4 v[34:37], v10, s[8:9]
	global_load_dwordx4 v[60:63], v10, s[8:9] offset:16
	global_load_dwordx4 v[64:67], v10, s[8:9] offset:32
	global_load_dwordx4 v[68:71], v10, s[8:9] offset:48
	global_load_dwordx4 v[72:75], v10, s[8:9] offset:64
	global_load_dwordx4 v[76:79], v10, s[8:9] offset:80
	ds_read2_b32 v[14:15], v27 offset1:153
	ds_read2_b32 v[12:13], v13 offset0:50 offset1:203
	ds_read2_b32 v[24:25], v17 offset0:100 offset1:253
	;; [unrolled: 1-line block ×5, first 2 shown]
	ds_read_b32 v10, v27 offset:7344
	s_mov_b32 s1, 0x3f62ad3f
	s_mov_b32 s0, 0x3f116cb1
	;; [unrolled: 1-line block ×6, first 2 shown]
	v_mul_u32_u24_e32 v38, 0x374, v38
	s_waitcnt vmcnt(0) lgkmcnt(0)
	s_barrier
	v_mul_f32_e32 v57, v15, v35
	v_mul_f32_e32 v42, v12, v37
	;; [unrolled: 1-line block ×10, first 2 shown]
	v_fmac_f32_e32 v57, v44, v34
	v_mul_f32_e32 v58, v10, v79
	v_fmac_f32_e32 v42, v53, v36
	v_fmac_f32_e32 v16, v49, v66
	v_fma_f32 v49, v10, v78, -v73
	v_add_f32_e32 v10, v43, v57
	v_mul_f32_e32 v32, v24, v63
	v_fmac_f32_e32 v37, v54, v60
	v_add_f32_e32 v10, v10, v42
	v_mul_f32_e32 v28, v25, v65
	v_fmac_f32_e32 v32, v51, v62
	v_add_f32_e32 v10, v10, v37
	v_fmac_f32_e32 v28, v52, v64
	v_add_f32_e32 v10, v10, v32
	v_mul_f32_e32 v17, v19, v69
	v_add_f32_e32 v10, v10, v28
	v_mul_f32_e32 v29, v20, v71
	v_fmac_f32_e32 v17, v50, v68
	v_add_f32_e32 v10, v10, v16
	v_fmac_f32_e32 v29, v47, v70
	v_add_f32_e32 v10, v10, v17
	v_mul_f32_e32 v26, v44, v35
	v_mul_f32_e32 v39, v22, v75
	v_fmac_f32_e32 v33, v48, v72
	v_add_f32_e32 v10, v10, v29
	v_mul_f32_e32 v56, v23, v77
	v_fma_f32 v59, v15, v34, -v26
	v_fmac_f32_e32 v39, v45, v74
	v_add_f32_e32 v10, v10, v33
	v_mul_f32_e32 v35, v51, v63
	v_mul_f32_e32 v41, v52, v65
	;; [unrolled: 1-line block ×5, first 2 shown]
	v_fma_f32 v44, v12, v36, -v30
	v_fmac_f32_e32 v56, v46, v76
	v_sub_f32_e32 v12, v59, v49
	v_add_f32_e32 v10, v10, v39
	v_mul_f32_e32 v69, v45, v75
	v_fma_f32 v40, v13, v60, -v31
	v_fma_f32 v30, v25, v64, -v41
	;; [unrolled: 1-line block ×5, first 2 shown]
	v_fmac_f32_e32 v58, v11, v78
	v_mul_f32_e32 v13, 0xbeedf032, v12
	v_mul_f32_e32 v18, 0xbf52af12, v12
	;; [unrolled: 1-line block ×3, first 2 shown]
	v_add_f32_e32 v10, v10, v56
	v_mul_f32_e32 v23, 0xbf6f5d39, v12
	v_mul_f32_e32 v25, 0xbf29c268, v12
	v_mul_f32_e32 v12, 0xbe750f2a, v12
	v_fma_f32 v34, v24, v62, -v35
	v_fma_f32 v31, v20, v70, -v65
	;; [unrolled: 1-line block ×4, first 2 shown]
	v_add_f32_e32 v11, v57, v58
	v_mov_b32_e32 v20, v13
	v_mov_b32_e32 v21, v18
	v_add_f32_e32 v22, v10, v58
	v_mov_b32_e32 v10, v19
	v_mov_b32_e32 v24, v23
	;; [unrolled: 1-line block ×4, first 2 shown]
	v_fma_f32 v13, v11, s1, -v13
	v_fma_f32 v18, v11, s0, -v18
	v_fmac_f32_e32 v20, 0x3f62ad3f, v11
	v_fmac_f32_e32 v21, 0x3f116cb1, v11
	;; [unrolled: 1-line block ×3, first 2 shown]
	v_fma_f32 v19, v11, s2, -v19
	v_fmac_f32_e32 v24, 0xbeb58ec6, v11
	v_fma_f32 v23, v11, s3, -v23
	v_fmac_f32_e32 v36, 0xbf3f9e67, v11
	;; [unrolled: 2-line block ×3, first 2 shown]
	v_fma_f32 v11, v11, s5, -v12
	v_add_f32_e32 v13, v43, v13
	v_add_f32_e32 v18, v43, v18
	;; [unrolled: 1-line block ×12, first 2 shown]
	v_sub_f32_e32 v43, v44, v45
	v_add_f32_e32 v12, v42, v56
	v_mul_f32_e32 v47, 0xbf52af12, v43
	v_mov_b32_e32 v48, v47
	v_fma_f32 v47, v12, s0, -v47
	v_fmac_f32_e32 v48, 0x3f116cb1, v12
	v_add_f32_e32 v13, v47, v13
	v_mul_f32_e32 v47, 0xbf6f5d39, v43
	v_add_f32_e32 v20, v48, v20
	v_mov_b32_e32 v48, v47
	v_fma_f32 v47, v12, s3, -v47
	v_fmac_f32_e32 v48, 0xbeb58ec6, v12
	v_add_f32_e32 v18, v47, v18
	v_mul_f32_e32 v47, 0xbe750f2a, v43
	v_add_f32_e32 v21, v48, v21
	v_mov_b32_e32 v48, v47
	v_fma_f32 v47, v12, s5, -v47
	v_fmac_f32_e32 v48, 0xbf788fa5, v12
	v_add_f32_e32 v19, v47, v19
	v_mul_f32_e32 v47, 0x3f29c268, v43
	v_add_f32_e32 v10, v48, v10
	v_mov_b32_e32 v48, v47
	v_fma_f32 v47, v12, s4, -v47
	v_fmac_f32_e32 v48, 0xbf3f9e67, v12
	v_add_f32_e32 v23, v47, v23
	v_mul_f32_e32 v47, 0x3f7e222b, v43
	v_add_f32_e32 v24, v48, v24
	v_mov_b32_e32 v48, v47
	v_fma_f32 v47, v12, s2, -v47
	v_mul_f32_e32 v43, 0x3eedf032, v43
	v_add_f32_e32 v25, v47, v25
	v_mov_b32_e32 v47, v43
	v_fmac_f32_e32 v48, 0x3df6dbef, v12
	v_fmac_f32_e32 v47, 0x3f62ad3f, v12
	v_fma_f32 v12, v12, s1, -v43
	v_sub_f32_e32 v43, v40, v41
	v_add_f32_e32 v46, v47, v46
	v_add_f32_e32 v11, v12, v11
	v_add_f32_e32 v12, v37, v39
	v_mul_f32_e32 v47, 0xbf7e222b, v43
	v_add_f32_e32 v36, v48, v36
	v_mov_b32_e32 v48, v47
	v_fma_f32 v47, v12, s2, -v47
	v_fmac_f32_e32 v48, 0x3df6dbef, v12
	v_add_f32_e32 v13, v47, v13
	v_mul_f32_e32 v47, 0xbe750f2a, v43
	v_add_f32_e32 v20, v48, v20
	v_mov_b32_e32 v48, v47
	v_fma_f32 v47, v12, s5, -v47
	v_fmac_f32_e32 v48, 0xbf788fa5, v12
	v_add_f32_e32 v18, v47, v18
	v_mul_f32_e32 v47, 0x3f6f5d39, v43
	v_add_f32_e32 v21, v48, v21
	v_mov_b32_e32 v48, v47
	v_fma_f32 v47, v12, s3, -v47
	v_fmac_f32_e32 v48, 0xbeb58ec6, v12
	v_add_f32_e32 v19, v47, v19
	v_mul_f32_e32 v47, 0x3eedf032, v43
	v_add_f32_e32 v10, v48, v10
	v_mov_b32_e32 v48, v47
	v_fma_f32 v47, v12, s1, -v47
	v_fmac_f32_e32 v48, 0x3f62ad3f, v12
	v_add_f32_e32 v23, v47, v23
	v_mul_f32_e32 v47, 0xbf52af12, v43
	v_add_f32_e32 v24, v48, v24
	v_mov_b32_e32 v48, v47
	v_fma_f32 v47, v12, s0, -v47
	v_mul_f32_e32 v43, 0xbf29c268, v43
	v_add_f32_e32 v25, v47, v25
	v_mov_b32_e32 v47, v43
	v_fmac_f32_e32 v48, 0x3f116cb1, v12
	v_fmac_f32_e32 v47, 0xbf3f9e67, v12
	v_fma_f32 v12, v12, s4, -v43
	v_sub_f32_e32 v43, v34, v35
	v_add_f32_e32 v46, v47, v46
	v_add_f32_e32 v11, v12, v11
	v_add_f32_e32 v12, v32, v33
	v_mul_f32_e32 v47, 0xbf6f5d39, v43
	v_add_f32_e32 v36, v48, v36
	;; [unrolled: 38-line block ×3, first 2 shown]
	v_mov_b32_e32 v48, v47
	v_fma_f32 v47, v12, s4, -v47
	v_fmac_f32_e32 v48, 0xbf3f9e67, v12
	v_add_f32_e32 v13, v47, v13
	v_mul_f32_e32 v47, 0x3f7e222b, v43
	v_add_f32_e32 v20, v48, v20
	v_mov_b32_e32 v48, v47
	v_fma_f32 v47, v12, s2, -v47
	v_fmac_f32_e32 v48, 0x3df6dbef, v12
	v_add_f32_e32 v18, v47, v18
	v_mul_f32_e32 v47, 0xbf52af12, v43
	v_add_f32_e32 v21, v48, v21
	;; [unrolled: 6-line block ×4, first 2 shown]
	v_mov_b32_e32 v48, v47
	v_fma_f32 v47, v12, s1, -v47
	v_mul_f32_e32 v43, 0xbf6f5d39, v43
	v_fmac_f32_e32 v48, 0x3f62ad3f, v12
	v_add_f32_e32 v25, v47, v25
	v_mov_b32_e32 v47, v43
	v_add_f32_e32 v36, v48, v36
	v_fmac_f32_e32 v47, 0xbeb58ec6, v12
	v_fma_f32 v12, v12, s3, -v43
	v_sub_f32_e32 v48, v15, v26
	v_add_f32_e32 v46, v47, v46
	v_add_f32_e32 v43, v12, v11
	v_add_f32_e32 v47, v16, v17
	v_mul_f32_e32 v11, 0xbe750f2a, v48
	v_mov_b32_e32 v12, v11
	v_fma_f32 v11, v47, s5, -v11
	v_fmac_f32_e32 v12, 0xbf788fa5, v47
	v_add_f32_e32 v13, v11, v13
	v_mul_f32_e32 v11, 0x3eedf032, v48
	v_add_f32_e32 v20, v12, v20
	v_mov_b32_e32 v12, v11
	v_fmac_f32_e32 v12, 0x3f62ad3f, v47
	v_fma_f32 v11, v47, s1, -v11
	v_add_f32_e32 v21, v12, v21
	v_add_f32_e32 v12, v11, v18
	v_mul_f32_e32 v11, 0xbf29c268, v48
	v_mov_b32_e32 v18, v11
	v_fmac_f32_e32 v18, 0xbf3f9e67, v47
	v_add_f32_e32 v18, v18, v10
	v_fma_f32 v10, v47, s4, -v11
	v_add_f32_e32 v11, v10, v19
	v_mul_f32_e32 v10, 0x3f52af12, v48
	v_mov_b32_e32 v19, v10
	v_fma_f32 v10, v47, s0, -v10
	v_fmac_f32_e32 v19, 0x3f116cb1, v47
	v_add_f32_e32 v10, v10, v23
	v_mul_f32_e32 v23, 0xbf6f5d39, v48
	v_add_f32_e32 v19, v19, v24
	v_mov_b32_e32 v24, v23
	v_fma_f32 v23, v47, s3, -v23
	v_fmac_f32_e32 v24, 0xbeb58ec6, v47
	v_add_f32_e32 v23, v23, v25
	v_mul_f32_e32 v25, 0x3f7e222b, v48
	v_add_f32_e32 v24, v24, v36
	v_mov_b32_e32 v36, v25
	v_fma_f32 v25, v47, s2, -v25
	v_add_f32_e32 v25, v25, v43
	v_mov_b32_e32 v43, 2
	v_fmac_f32_e32 v36, 0x3df6dbef, v47
	v_lshlrev_b32_sdwa v43, v43, v80 dst_sel:DWORD dst_unused:UNUSED_PAD src0_sel:DWORD src1_sel:BYTE_0
	v_add_f32_e32 v36, v36, v46
	v_add3_u32 v43, 0, v38, v43
	v_add_u32_e32 v46, 0x680, v27
	v_add_u32_e32 v47, 0xd80, v27
	;; [unrolled: 1-line block ×3, first 2 shown]
	ds_write2_b32 v43, v22, v20 offset1:17
	ds_write2_b32 v43, v21, v18 offset0:34 offset1:51
	ds_write2_b32 v43, v19, v24 offset0:68 offset1:85
	;; [unrolled: 1-line block ×5, first 2 shown]
	ds_write_b32 v43, v13 offset:816
	s_waitcnt lgkmcnt(0)
	s_barrier
	ds_read2_b32 v[18:19], v27 offset1:221
	ds_read2_b32 v[20:21], v46 offset0:26 offset1:247
	ds_read2_b32 v[22:23], v47 offset0:20 offset1:241
	;; [unrolled: 1-line block ×3, first 2 shown]
	ds_read_b32 v38, v27 offset:7072
	s_movk_i32 s0, 0x44
	v_cmp_gt_u32_e64 s[0:1], s0, v55
                                        ; implicit-def: $vgpr36
	s_and_saveexec_b64 s[2:3], s[0:1]
	s_cbranch_execz .LBB0_17
; %bb.16:
	v_add_u32_e32 v2, 0x200, v27
	ds_read2_b32 v[10:11], v2 offset0:25 offset1:246
	v_add_u32_e32 v2, 0x900, v27
	ds_read2_b32 v[12:13], v2 offset0:19 offset1:240
	v_add_u32_e32 v2, 0x1000, v27
	ds_read2_b32 v[4:5], v2 offset0:13 offset1:234
	v_add_u32_e32 v2, 0x1700, v27
	ds_read2_b32 v[2:3], v2 offset0:7 offset1:228
	ds_read_b32 v36, v27 offset:7684
.LBB0_17:
	s_or_b64 exec, exec, s[2:3]
	v_add_f32_e32 v50, v14, v59
	v_add_f32_e32 v50, v50, v44
	;; [unrolled: 1-line block ×13, first 2 shown]
	v_sub_f32_e32 v51, v57, v58
	v_mul_f32_e32 v52, 0x3f62ad3f, v49
	v_mul_f32_e32 v54, 0x3f116cb1, v49
	;; [unrolled: 1-line block ×6, first 2 shown]
	v_mov_b32_e32 v53, v52
	v_mov_b32_e32 v57, v54
	v_mov_b32_e32 v59, v58
	v_mov_b32_e32 v61, v60
	v_mov_b32_e32 v63, v62
	v_mov_b32_e32 v64, v49
	v_add_f32_e32 v44, v44, v45
	v_fmac_f32_e32 v53, 0x3eedf032, v51
	v_fmac_f32_e32 v52, 0xbeedf032, v51
	;; [unrolled: 1-line block ×12, first 2 shown]
	v_mul_f32_e32 v45, 0x3f116cb1, v44
	v_add_f32_e32 v53, v14, v53
	v_add_f32_e32 v52, v14, v52
	;; [unrolled: 1-line block ×12, first 2 shown]
	v_sub_f32_e32 v42, v42, v56
	v_mov_b32_e32 v49, v45
	v_fmac_f32_e32 v49, 0x3f52af12, v42
	v_fmac_f32_e32 v45, 0xbf52af12, v42
	v_mul_f32_e32 v51, 0xbeb58ec6, v44
	v_add_f32_e32 v49, v49, v53
	v_add_f32_e32 v45, v45, v52
	v_mov_b32_e32 v52, v51
	v_fmac_f32_e32 v51, 0xbf6f5d39, v42
	v_mul_f32_e32 v53, 0xbf788fa5, v44
	v_fmac_f32_e32 v52, 0x3f6f5d39, v42
	v_add_f32_e32 v51, v51, v54
	v_mov_b32_e32 v54, v53
	v_fmac_f32_e32 v53, 0xbe750f2a, v42
	v_mul_f32_e32 v56, 0xbf3f9e67, v44
	v_add_f32_e32 v52, v52, v57
	v_fmac_f32_e32 v54, 0x3e750f2a, v42
	v_add_f32_e32 v53, v53, v58
	v_mov_b32_e32 v57, v56
	v_fmac_f32_e32 v56, 0x3f29c268, v42
	v_mul_f32_e32 v58, 0x3df6dbef, v44
	v_mul_f32_e32 v44, 0x3f62ad3f, v44
	v_add_f32_e32 v40, v40, v41
	v_add_f32_e32 v54, v54, v59
	v_add_f32_e32 v56, v56, v60
	v_mov_b32_e32 v59, v58
	v_mov_b32_e32 v60, v44
	v_sub_f32_e32 v37, v37, v39
	v_mul_f32_e32 v39, 0x3df6dbef, v40
	v_fmac_f32_e32 v57, 0xbf29c268, v42
	v_fmac_f32_e32 v59, 0xbf7e222b, v42
	v_fmac_f32_e32 v58, 0x3f7e222b, v42
	v_fmac_f32_e32 v60, 0xbeedf032, v42
	v_fmac_f32_e32 v44, 0x3eedf032, v42
	v_mov_b32_e32 v41, v39
	v_fmac_f32_e32 v39, 0xbf7e222b, v37
	v_mul_f32_e32 v42, 0xbf788fa5, v40
	v_add_f32_e32 v14, v44, v14
	v_fmac_f32_e32 v41, 0x3f7e222b, v37
	v_add_f32_e32 v39, v39, v45
	v_mov_b32_e32 v44, v42
	v_fmac_f32_e32 v42, 0xbe750f2a, v37
	v_mul_f32_e32 v45, 0xbeb58ec6, v40
	v_add_f32_e32 v41, v41, v49
	v_fmac_f32_e32 v44, 0x3e750f2a, v37
	v_add_f32_e32 v42, v42, v51
	v_mov_b32_e32 v49, v45
	v_fmac_f32_e32 v45, 0x3f6f5d39, v37
	v_mul_f32_e32 v51, 0x3f62ad3f, v40
	v_add_f32_e32 v44, v44, v52
	v_fmac_f32_e32 v49, 0xbf6f5d39, v37
	v_add_f32_e32 v45, v45, v53
	v_mov_b32_e32 v52, v51
	v_fmac_f32_e32 v51, 0x3eedf032, v37
	v_mul_f32_e32 v53, 0x3f116cb1, v40
	v_mul_f32_e32 v40, 0xbf3f9e67, v40
	v_add_f32_e32 v34, v34, v35
	v_add_f32_e32 v49, v49, v54
	v_add_f32_e32 v51, v51, v56
	v_mov_b32_e32 v54, v53
	v_mov_b32_e32 v56, v40
	v_sub_f32_e32 v32, v32, v33
	v_mul_f32_e32 v33, 0xbeb58ec6, v34
	v_fmac_f32_e32 v52, 0xbeedf032, v37
	v_fmac_f32_e32 v54, 0x3f52af12, v37
	v_fmac_f32_e32 v53, 0xbf52af12, v37
	v_fmac_f32_e32 v56, 0x3f29c268, v37
	v_fmac_f32_e32 v40, 0xbf29c268, v37
	v_mov_b32_e32 v35, v33
	v_fmac_f32_e32 v33, 0xbf6f5d39, v32
	v_mul_f32_e32 v37, 0xbf3f9e67, v34
	v_add_f32_e32 v14, v40, v14
	v_fmac_f32_e32 v35, 0x3f6f5d39, v32
	v_add_f32_e32 v33, v33, v39
	v_mov_b32_e32 v39, v37
	v_fmac_f32_e32 v37, 0x3f29c268, v32
	v_mul_f32_e32 v40, 0x3f62ad3f, v34
	v_add_f32_e32 v35, v35, v41
	v_fmac_f32_e32 v39, 0xbf29c268, v32
	v_add_f32_e32 v37, v37, v42
	v_mov_b32_e32 v41, v40
	v_fmac_f32_e32 v40, 0x3eedf032, v32
	v_mul_f32_e32 v42, 0x3df6dbef, v34
	v_add_f32_e32 v39, v39, v44
	v_fmac_f32_e32 v41, 0xbeedf032, v32
	v_add_f32_e32 v40, v40, v45
	v_mov_b32_e32 v44, v42
	v_fmac_f32_e32 v42, 0xbf7e222b, v32
	v_mul_f32_e32 v45, 0xbf788fa5, v34
	v_mul_f32_e32 v34, 0x3f116cb1, v34
	v_add_f32_e32 v30, v30, v31
	v_add_f32_e32 v41, v41, v49
	v_add_f32_e32 v42, v42, v51
	v_mov_b32_e32 v49, v45
	v_mov_b32_e32 v51, v34
	v_sub_f32_e32 v28, v28, v29
	v_mul_f32_e32 v29, 0xbf3f9e67, v30
	v_fmac_f32_e32 v44, 0x3f7e222b, v32
	v_fmac_f32_e32 v49, 0xbe750f2a, v32
	v_fmac_f32_e32 v45, 0x3e750f2a, v32
	v_fmac_f32_e32 v51, 0xbf52af12, v32
	v_fmac_f32_e32 v34, 0x3f52af12, v32
	v_mov_b32_e32 v31, v29
	v_fmac_f32_e32 v29, 0xbf29c268, v28
	v_mul_f32_e32 v32, 0x3df6dbef, v30
	v_add_f32_e32 v14, v34, v14
	v_fmac_f32_e32 v31, 0x3f29c268, v28
	v_add_f32_e32 v29, v29, v33
	v_mov_b32_e32 v33, v32
	v_fmac_f32_e32 v32, 0x3f7e222b, v28
	v_mul_f32_e32 v34, 0x3f116cb1, v30
	v_add_f32_e32 v31, v31, v35
	v_fmac_f32_e32 v33, 0xbf7e222b, v28
	v_add_f32_e32 v32, v32, v37
	v_mov_b32_e32 v35, v34
	v_fmac_f32_e32 v34, 0xbf52af12, v28
	v_mul_f32_e32 v37, 0xbf788fa5, v30
	v_add_f32_e32 v33, v33, v39
	v_fmac_f32_e32 v35, 0x3f52af12, v28
	v_add_f32_e32 v34, v34, v40
	v_mov_b32_e32 v39, v37
	v_fmac_f32_e32 v37, 0x3e750f2a, v28
	v_mul_f32_e32 v40, 0x3f62ad3f, v30
	v_mul_f32_e32 v30, 0xbeb58ec6, v30
	v_add_f32_e32 v35, v35, v41
	v_add_f32_e32 v37, v37, v42
	v_mov_b32_e32 v41, v40
	v_mov_b32_e32 v42, v30
	v_fmac_f32_e32 v30, 0xbf6f5d39, v28
	v_add_f32_e32 v26, v15, v26
	v_fmac_f32_e32 v39, 0xbe750f2a, v28
	v_fmac_f32_e32 v41, 0xbeedf032, v28
	;; [unrolled: 1-line block ×4, first 2 shown]
	v_add_f32_e32 v28, v30, v14
	v_sub_f32_e32 v30, v16, v17
	v_mul_f32_e32 v14, 0xbf788fa5, v26
	v_mov_b32_e32 v15, v14
	v_fmac_f32_e32 v14, 0xbe750f2a, v30
	v_fmac_f32_e32 v15, 0x3e750f2a, v30
	v_add_f32_e32 v17, v14, v29
	v_mul_f32_e32 v14, 0x3f62ad3f, v26
	v_add_f32_e32 v31, v15, v31
	v_mov_b32_e32 v15, v14
	v_fmac_f32_e32 v14, 0x3eedf032, v30
	v_fmac_f32_e32 v15, 0xbeedf032, v30
	v_add_f32_e32 v16, v14, v32
	v_mul_f32_e32 v14, 0xbf3f9e67, v26
	v_add_f32_e32 v29, v15, v33
	v_mov_b32_e32 v15, v14
	v_add_f32_e32 v57, v57, v61
	v_add_f32_e32 v59, v59, v63
	;; [unrolled: 1-line block ×3, first 2 shown]
	v_fmac_f32_e32 v15, 0x3f29c268, v30
	v_fmac_f32_e32 v14, 0xbf29c268, v30
	v_add_f32_e32 v60, v60, v64
	v_add_f32_e32 v52, v52, v57
	;; [unrolled: 1-line block ×6, first 2 shown]
	v_mul_f32_e32 v14, 0x3f116cb1, v26
	v_mul_f32_e32 v34, 0xbeb58ec6, v26
	v_add_f32_e32 v56, v56, v60
	v_add_f32_e32 v44, v44, v52
	;; [unrolled: 1-line block ×4, first 2 shown]
	v_mov_b32_e32 v33, v14
	v_fmac_f32_e32 v14, 0x3f52af12, v30
	v_mov_b32_e32 v35, v34
	v_mul_f32_e32 v26, 0x3df6dbef, v26
	v_add_f32_e32 v51, v51, v56
	v_add_f32_e32 v39, v39, v44
	;; [unrolled: 1-line block ×4, first 2 shown]
	v_fmac_f32_e32 v33, 0xbf52af12, v30
	v_add_f32_e32 v14, v14, v37
	v_fmac_f32_e32 v35, 0x3f6f5d39, v30
	v_fmac_f32_e32 v34, 0xbf6f5d39, v30
	v_mov_b32_e32 v37, v26
	v_add_f32_e32 v42, v42, v51
	v_add_f32_e32 v33, v33, v39
	v_add_f32_e32 v35, v35, v41
	v_add_f32_e32 v34, v34, v40
	v_fmac_f32_e32 v37, 0xbf7e222b, v30
	v_fmac_f32_e32 v26, 0x3f7e222b, v30
	v_add_f32_e32 v37, v37, v42
	v_add_f32_e32 v26, v26, v28
	s_waitcnt lgkmcnt(0)
	s_barrier
	ds_write2_b32 v43, v50, v31 offset1:17
	ds_write2_b32 v43, v29, v32 offset0:34 offset1:51
	ds_write2_b32 v43, v33, v35 offset0:68 offset1:85
	;; [unrolled: 1-line block ×5, first 2 shown]
	ds_write_b32 v43, v17 offset:816
	s_waitcnt lgkmcnt(0)
	s_barrier
	ds_read2_b32 v[28:29], v27 offset1:221
	ds_read2_b32 v[30:31], v46 offset0:26 offset1:247
	ds_read2_b32 v[32:33], v47 offset0:20 offset1:241
	;; [unrolled: 1-line block ×3, first 2 shown]
	ds_read_b32 v39, v27 offset:7072
                                        ; implicit-def: $vgpr37
	s_and_saveexec_b64 s[2:3], s[0:1]
	s_cbranch_execz .LBB0_19
; %bb.18:
	v_add_u32_e32 v6, 0x200, v27
	ds_read2_b32 v[14:15], v6 offset0:25 offset1:246
	v_add_u32_e32 v6, 0x900, v27
	ds_read2_b32 v[16:17], v6 offset0:19 offset1:240
	;; [unrolled: 2-line block ×4, first 2 shown]
	ds_read_b32 v37, v27 offset:7684
.LBB0_19:
	s_or_b64 exec, exec, s[2:3]
	s_and_saveexec_b64 s[2:3], vcc
	s_cbranch_execz .LBB0_22
; %bb.20:
	v_lshlrev_b32_e32 v26, 3, v55
	v_mov_b32_e32 v27, 0
	v_lshlrev_b64 v[40:41], 3, v[26:27]
	v_mov_b32_e32 v26, s9
	v_add_co_u32_e32 v52, vcc, s8, v40
	v_addc_co_u32_e32 v53, vcc, v26, v41, vcc
	global_load_dwordx4 v[40:43], v[52:53], off offset:1632
	global_load_dwordx4 v[44:47], v[52:53], off offset:1680
	;; [unrolled: 1-line block ×4, first 2 shown]
	s_waitcnt lgkmcnt(4)
	v_mov_b32_e32 v26, v28
	v_mov_b32_e32 v52, v18
	s_mov_b32 s2, 0xbf248dbb
	v_add_co_u32_e32 v0, vcc, s14, v0
	s_waitcnt vmcnt(3)
	v_mul_f32_e32 v62, v20, v42
	s_waitcnt vmcnt(2)
	v_mul_f32_e32 v63, v25, v44
	;; [unrolled: 2-line block ×4, first 2 shown]
	v_mul_f32_e32 v25, v25, v45
	v_mul_f32_e32 v20, v20, v43
	;; [unrolled: 1-line block ×10, first 2 shown]
	s_waitcnt lgkmcnt(3)
	v_fmac_f32_e32 v62, v30, v43
	s_waitcnt lgkmcnt(1)
	v_fmac_f32_e32 v63, v35, v45
	v_fmac_f32_e32 v64, v32, v51
	;; [unrolled: 1-line block ×3, first 2 shown]
	v_fma_f32 v25, v35, v44, -v25
	v_fma_f32 v20, v30, v42, -v20
	;; [unrolled: 1-line block ×4, first 2 shown]
	v_mul_f32_e32 v61, v24, v58
	v_mul_f32_e32 v24, v24, v59
	v_fmac_f32_e32 v53, v29, v41
	s_waitcnt lgkmcnt(0)
	v_fmac_f32_e32 v54, v39, v47
	v_fma_f32 v21, v31, v48, -v21
	v_fma_f32 v30, v39, v46, -v38
	;; [unrolled: 1-line block ×3, first 2 shown]
	v_sub_f32_e32 v40, v64, v65
	v_add_f32_e32 v41, v20, v25
	v_sub_f32_e32 v48, v22, v23
	v_add_f32_e32 v50, v62, v63
	v_fmac_f32_e32 v60, v31, v49
	v_fmac_f32_e32 v61, v34, v59
	v_fma_f32 v24, v34, v58, -v24
	v_sub_f32_e32 v35, v53, v54
	v_sub_f32_e32 v39, v62, v63
	v_add_f32_e32 v42, v22, v23
	v_add_f32_e32 v44, v19, v30
	v_sub_f32_e32 v45, v19, v30
	v_sub_f32_e32 v47, v20, v25
	v_add_f32_e32 v49, v64, v65
	v_add_f32_e32 v53, v53, v54
	v_mul_f32_e32 v19, 0x3f7c1c5c, v40
	v_fmac_f32_e32 v26, 0x3f441b7d, v41
	v_mul_f32_e32 v20, 0x3f7c1c5c, v48
	v_fmac_f32_e32 v52, 0x3f441b7d, v50
	v_sub_f32_e32 v38, v60, v61
	v_add_f32_e32 v43, v21, v24
	v_sub_f32_e32 v46, v21, v24
	v_add_f32_e32 v51, v60, v61
	v_add_f32_e32 v25, v44, v41
	;; [unrolled: 1-line block ×3, first 2 shown]
	v_fma_f32 v24, v39, s2, -v19
	v_fmac_f32_e32 v26, 0x3e31d0d4, v42
	v_fma_f32 v30, v47, s2, -v20
	v_fmac_f32_e32 v52, 0x3e31d0d4, v49
	v_add_f32_e32 v19, v43, v25
	v_add_f32_e32 v20, v51, v29
	v_fmac_f32_e32 v24, 0x3f5db3d7, v38
	v_fmac_f32_e32 v26, -0.5, v43
	v_fmac_f32_e32 v30, 0x3f5db3d7, v46
	v_fmac_f32_e32 v52, -0.5, v51
	v_add_f32_e32 v19, v22, v19
	v_add_f32_e32 v20, v64, v20
	v_fmac_f32_e32 v24, 0x3eaf1d44, v35
	v_fmac_f32_e32 v26, 0xbf708fb2, v44
	v_fmac_f32_e32 v30, 0x3eaf1d44, v45
	v_fmac_f32_e32 v52, 0xbf708fb2, v53
	v_add_f32_e32 v21, v23, v19
	v_add_f32_e32 v23, v65, v20
	;; [unrolled: 1-line block ×3, first 2 shown]
	v_sub_f32_e32 v19, v52, v30
	v_add_f32_e32 v26, v35, v40
	v_add_f32_e32 v22, v28, v21
	;; [unrolled: 1-line block ×3, first 2 shown]
	v_fma_f32 v23, 2.0, v30, v19
	v_sub_f32_e32 v30, v26, v39
	v_add_f32_e32 v26, v28, v43
	v_add_f32_e32 v25, v25, v42
	v_fmac_f32_e32 v26, -0.5, v25
	v_mul_f32_e32 v31, 0x3f5db3d7, v30
	v_fmac_f32_e32 v26, 0x3f5db3d7, v30
	v_add_f32_e32 v25, v45, v48
	v_fma_f32 v30, -2.0, v31, v26
	v_sub_f32_e32 v31, v25, v47
	v_add_f32_e32 v25, v18, v51
	v_add_f32_e32 v29, v29, v49
	v_fmac_f32_e32 v25, -0.5, v29
	v_mul_f32_e32 v32, 0x3f5db3d7, v31
	v_fmac_f32_e32 v25, 0xbf5db3d7, v31
	v_fma_f32 v29, 2.0, v32, v25
	v_mov_b32_e32 v32, v28
	v_fmac_f32_e32 v28, 0x3f441b7d, v44
	v_fmac_f32_e32 v32, 0x3f441b7d, v42
	v_fmac_f32_e32 v28, 0x3e31d0d4, v41
	v_fmac_f32_e32 v32, 0x3e31d0d4, v44
	v_fmac_f32_e32 v28, -0.5, v43
	v_mul_f32_e32 v31, 0xbf248dbb, v40
	v_fmac_f32_e32 v32, -0.5, v43
	v_mul_f32_e32 v52, 0x3f7c1c5c, v39
	v_fmac_f32_e32 v28, 0xbf708fb2, v42
	v_mad_u64_u32 v[42:43], s[4:5], s12, v55, 0
	v_fmac_f32_e32 v31, 0x3f7c1c5c, v35
	v_fmac_f32_e32 v52, 0x3f248dbb, v35
	;; [unrolled: 1-line block ×7, first 2 shown]
	v_add_f32_e32 v32, v31, v32
	v_add_f32_e32 v39, v52, v28
	v_mov_b32_e32 v28, v43
	v_fma_f32 v34, -2.0, v31, v32
	v_mul_f32_e32 v33, 0xbf248dbb, v48
	v_mov_b32_e32 v31, v18
	v_mul_f32_e32 v35, 0x3f7c1c5c, v47
	v_fmac_f32_e32 v18, 0x3f441b7d, v53
	v_mad_u64_u32 v[43:44], s[4:5], s13, v55, v[28:29]
	v_add_u32_e32 v28, 0xdd, v55
	v_fmac_f32_e32 v33, 0x3f7c1c5c, v45
	v_fmac_f32_e32 v35, 0x3f248dbb, v45
	;; [unrolled: 1-line block ×3, first 2 shown]
	v_mad_u64_u32 v[44:45], s[4:5], s12, v28, 0
	v_fmac_f32_e32 v35, 0x3f5db3d7, v46
	v_fmac_f32_e32 v18, -0.5, v51
	v_fmac_f32_e32 v35, 0x3eaf1d44, v48
	v_fmac_f32_e32 v18, 0xbf708fb2, v49
	v_sub_f32_e32 v38, v18, v35
	v_mov_b32_e32 v18, s15
	v_addc_co_u32_e32 v1, vcc, v18, v1, vcc
	v_mov_b32_e32 v18, v45
	v_fmac_f32_e32 v33, 0xbf5db3d7, v46
	v_lshlrev_b64 v[42:43], 3, v[42:43]
	v_mad_u64_u32 v[45:46], s[4:5], s13, v28, v[18:19]
	v_add_u32_e32 v28, 0x1ba, v55
	v_fmac_f32_e32 v33, 0x3eaf1d44, v47
	v_add_co_u32_e32 v42, vcc, v0, v42
	v_mad_u64_u32 v[46:47], s[4:5], s12, v28, 0
	v_addc_co_u32_e32 v43, vcc, v1, v43, vcc
	global_store_dwordx2 v[42:43], v[21:22], off
	v_lshlrev_b64 v[21:22], 3, v[44:45]
	v_mov_b32_e32 v18, v47
	v_add_co_u32_e32 v21, vcc, v0, v21
	v_mad_u64_u32 v[42:43], s[4:5], s13, v28, v[18:19]
	v_addc_co_u32_e32 v22, vcc, v1, v22, vcc
	v_add_u32_e32 v28, 0x297, v55
	v_fma_f32 v41, -2.0, v52, v39
	v_fma_f32 v40, 2.0, v35, v38
	global_store_dwordx2 v[21:22], v[38:39], off
	v_mad_u64_u32 v[38:39], s[4:5], s12, v28, 0
	v_fmac_f32_e32 v31, 0x3f441b7d, v49
	v_mov_b32_e32 v47, v42
	v_mov_b32_e32 v18, v39
	v_mad_u64_u32 v[42:43], s[4:5], s13, v28, v[18:19]
	v_fmac_f32_e32 v31, 0x3e31d0d4, v53
	v_lshlrev_b64 v[21:22], 3, v[46:47]
	v_fmac_f32_e32 v31, -0.5, v51
	v_add_u32_e32 v28, 0x374, v55
	v_fmac_f32_e32 v31, 0xbf708fb2, v50
	v_add_co_u32_e32 v21, vcc, v0, v21
	v_mad_u64_u32 v[43:44], s[4:5], s12, v28, 0
	v_sub_f32_e32 v31, v31, v33
	v_addc_co_u32_e32 v22, vcc, v1, v22, vcc
	v_mov_b32_e32 v39, v42
	global_store_dwordx2 v[21:22], v[31:32], off
	v_lshlrev_b64 v[21:22], 3, v[38:39]
	v_mov_b32_e32 v18, v44
	v_add_co_u32_e32 v21, vcc, v0, v21
	v_fma_f32 v33, 2.0, v33, v31
	v_mad_u64_u32 v[31:32], s[4:5], s13, v28, v[18:19]
	v_addc_co_u32_e32 v22, vcc, v1, v22, vcc
	v_add_u32_e32 v28, 0x451, v55
	global_store_dwordx2 v[21:22], v[25:26], off
	v_mad_u64_u32 v[25:26], s[4:5], s12, v28, 0
	v_mov_b32_e32 v44, v31
	v_lshlrev_b64 v[21:22], 3, v[43:44]
	v_mov_b32_e32 v18, v26
	v_mad_u64_u32 v[31:32], s[4:5], s13, v28, v[18:19]
	v_add_u32_e32 v28, 0x52e, v55
	v_mad_u64_u32 v[38:39], s[4:5], s12, v28, 0
	v_add_co_u32_e32 v21, vcc, v0, v21
	v_addc_co_u32_e32 v22, vcc, v1, v22, vcc
	v_fma_f32 v24, -2.0, v24, v20
	global_store_dwordx2 v[21:22], v[19:20], off
	v_mov_b32_e32 v20, v39
	v_mad_u64_u32 v[20:21], s[4:5], s13, v28, v[20:21]
	v_mov_b32_e32 v26, v31
	v_add_u32_e32 v22, 0x60b, v55
	v_lshlrev_b64 v[18:19], 3, v[25:26]
	v_mov_b32_e32 v39, v20
	v_mad_u64_u32 v[20:21], s[4:5], s12, v22, 0
	v_add_co_u32_e32 v18, vcc, v0, v18
	v_addc_co_u32_e32 v19, vcc, v1, v19, vcc
	global_store_dwordx2 v[18:19], v[23:24], off
	v_mad_u64_u32 v[21:22], s[4:5], s13, v22, v[21:22]
	v_add_u32_e32 v24, 0x6e8, v55
	v_lshlrev_b64 v[18:19], 3, v[38:39]
	v_mad_u64_u32 v[22:23], s[4:5], s12, v24, 0
	v_add_co_u32_e32 v18, vcc, v0, v18
	v_addc_co_u32_e32 v19, vcc, v1, v19, vcc
	global_store_dwordx2 v[18:19], v[29:30], off
	v_lshlrev_b64 v[18:19], 3, v[20:21]
	v_mov_b32_e32 v20, v23
	v_mad_u64_u32 v[20:21], s[4:5], s13, v24, v[20:21]
	v_add_co_u32_e32 v18, vcc, v0, v18
	v_addc_co_u32_e32 v19, vcc, v1, v19, vcc
	v_mov_b32_e32 v23, v20
	global_store_dwordx2 v[18:19], v[33:34], off
	v_lshlrev_b64 v[18:19], 3, v[22:23]
	v_add_co_u32_e32 v18, vcc, v0, v18
	v_addc_co_u32_e32 v19, vcc, v1, v19, vcc
	global_store_dwordx2 v[18:19], v[40:41], off
	s_and_b64 exec, exec, s[0:1]
	s_cbranch_execz .LBB0_22
; %bb.21:
	v_add_u32_e32 v38, 0x99, v55
	v_add_u32_e32 v18, 0xffffffbc, v55
	v_cndmask_b32_e64 v18, v18, v38, s[0:1]
	v_lshlrev_b32_e32 v26, 3, v18
	v_lshlrev_b64 v[18:19], 3, v[26:27]
	v_mov_b32_e32 v20, s9
	v_add_co_u32_e32 v34, vcc, s8, v18
	v_addc_co_u32_e32 v35, vcc, v20, v19, vcc
	global_load_dwordx4 v[18:21], v[34:35], off offset:1632
	global_load_dwordx4 v[22:25], v[34:35], off offset:1648
	global_load_dwordx4 v[26:29], v[34:35], off offset:1664
	global_load_dwordx4 v[30:33], v[34:35], off offset:1680
	v_mov_b32_e32 v39, v10
	v_mov_b32_e32 v40, v14
	;; [unrolled: 1-line block ×4, first 2 shown]
	s_waitcnt vmcnt(3)
	v_mul_f32_e32 v41, v15, v19
	v_mul_f32_e32 v19, v11, v19
	;; [unrolled: 1-line block ×3, first 2 shown]
	s_waitcnt vmcnt(0)
	v_mul_f32_e32 v48, v37, v33
	v_mul_f32_e32 v43, v17, v23
	;; [unrolled: 1-line block ×8, first 2 shown]
	v_fmac_f32_e32 v41, v11, v18
	v_fmac_f32_e32 v48, v36, v32
	v_mul_f32_e32 v21, v12, v21
	v_mul_f32_e32 v27, v5, v27
	;; [unrolled: 1-line block ×4, first 2 shown]
	v_fma_f32 v11, v15, v18, -v19
	v_fmac_f32_e32 v42, v12, v20
	v_fmac_f32_e32 v43, v13, v22
	v_fma_f32 v13, v17, v22, -v23
	v_fmac_f32_e32 v44, v4, v24
	v_fma_f32 v17, v8, v24, -v25
	v_fmac_f32_e32 v45, v5, v26
	v_fmac_f32_e32 v47, v3, v30
	v_fma_f32 v4, v37, v32, -v33
	v_sub_f32_e32 v25, v41, v48
	v_mul_f32_e32 v29, v2, v29
	v_fma_f32 v12, v16, v20, -v21
	v_fma_f32 v18, v9, v26, -v27
	v_fmac_f32_e32 v46, v2, v28
	v_fma_f32 v3, v7, v30, -v31
	v_sub_f32_e32 v26, v11, v4
	v_sub_f32_e32 v27, v42, v47
	;; [unrolled: 1-line block ×3, first 2 shown]
	v_mul_f32_e32 v5, 0x3f248dbb, v25
	v_fma_f32 v2, v6, v28, -v29
	v_add_f32_e32 v22, v11, v4
	v_sub_f32_e32 v28, v12, v3
	v_sub_f32_e32 v29, v43, v46
	v_sub_f32_e32 v31, v17, v18
	v_mul_f32_e32 v4, 0x3f248dbb, v26
	v_mul_f32_e32 v9, 0xbf248dbb, v30
	v_fmac_f32_e32 v5, 0x3f7c1c5c, v27
	v_add_f32_e32 v24, v13, v2
	v_sub_f32_e32 v13, v13, v2
	v_mul_f32_e32 v8, 0xbf248dbb, v31
	v_fmac_f32_e32 v4, 0x3f7c1c5c, v28
	v_fmac_f32_e32 v9, 0x3f7c1c5c, v25
	;; [unrolled: 1-line block ×7, first 2 shown]
	v_add_f32_e32 v11, v30, v25
	v_mul_f32_e32 v30, 0x3f7c1c5c, v30
	v_add_f32_e32 v21, v41, v48
	v_add_f32_e32 v19, v42, v47
	;; [unrolled: 1-line block ×3, first 2 shown]
	v_fmac_f32_e32 v8, 0xbf5db3d7, v13
	v_fmac_f32_e32 v4, 0x3eaf1d44, v31
	;; [unrolled: 1-line block ×3, first 2 shown]
	v_add_f32_e32 v12, v31, v26
	v_sub_f32_e32 v15, v11, v27
	v_mul_f32_e32 v31, 0x3f7c1c5c, v31
	v_fma_f32 v27, v27, s2, -v30
	v_add_f32_e32 v23, v43, v46
	v_add_f32_e32 v32, v44, v45
	;; [unrolled: 1-line block ×3, first 2 shown]
	v_fmac_f32_e32 v8, 0x3eaf1d44, v28
	v_sub_f32_e32 v16, v12, v28
	v_add_f32_e32 v36, v19, v21
	v_add_f32_e32 v37, v20, v22
	v_fma_f32 v28, v28, s2, -v31
	v_fmac_f32_e32 v27, 0x3f5db3d7, v29
	v_fmac_f32_e32 v39, 0x3f441b7d, v32
	v_fmac_f32_e32 v40, 0x3f441b7d, v33
	v_fmac_f32_e32 v28, 0x3f5db3d7, v13
	v_fmac_f32_e32 v27, 0x3eaf1d44, v25
	v_add_f32_e32 v13, v23, v36
	v_add_f32_e32 v25, v24, v37
	v_fmac_f32_e32 v39, 0x3e31d0d4, v21
	v_fmac_f32_e32 v40, 0x3e31d0d4, v22
	v_add_f32_e32 v13, v44, v13
	v_add_f32_e32 v17, v17, v25
	v_fmac_f32_e32 v34, 0x3f441b7d, v21
	v_fmac_f32_e32 v35, 0x3f441b7d, v22
	v_fmac_f32_e32 v39, -0.5, v23
	v_fmac_f32_e32 v40, -0.5, v24
	v_add_f32_e32 v13, v45, v13
	v_add_f32_e32 v18, v18, v17
	v_fmac_f32_e32 v34, 0x3e31d0d4, v19
	v_fmac_f32_e32 v35, 0x3e31d0d4, v20
	v_fmac_f32_e32 v39, 0xbf708fb2, v19
	v_fmac_f32_e32 v40, 0xbf708fb2, v20
	v_add_f32_e32 v11, v10, v23
	v_add_f32_e32 v12, v14, v24
	;; [unrolled: 1-line block ×4, first 2 shown]
	v_fmac_f32_e32 v10, 0x3f441b7d, v19
	v_fmac_f32_e32 v14, 0x3f441b7d, v20
	v_mad_u64_u32 v[19:20], s[0:1], s12, v38, 0
	v_fmac_f32_e32 v10, 0x3e31d0d4, v32
	v_fmac_f32_e32 v14, 0x3e31d0d4, v33
	v_add_u32_e32 v25, 0x176, v55
	v_fmac_f32_e32 v34, -0.5, v23
	v_fmac_f32_e32 v35, -0.5, v24
	v_sub_f32_e32 v6, v39, v8
	v_add_f32_e32 v39, v32, v36
	v_fmac_f32_e32 v10, -0.5, v23
	v_fmac_f32_e32 v14, -0.5, v24
	v_mad_u64_u32 v[23:24], s[0:1], s12, v25, 0
	v_fmac_f32_e32 v11, -0.5, v39
	v_fmac_f32_e32 v28, 0x3eaf1d44, v26
	v_fmac_f32_e32 v10, 0xbf708fb2, v21
	;; [unrolled: 1-line block ×3, first 2 shown]
	v_sub_f32_e32 v13, v10, v28
	v_mov_b32_e32 v10, v20
	v_fmac_f32_e32 v14, 0xbf708fb2, v22
	v_mad_u64_u32 v[20:21], s[0:1], s13, v38, v[10:11]
	v_add_f32_e32 v14, v27, v14
	v_mov_b32_e32 v10, v24
	v_fma_f32 v22, -2.0, v27, v14
	v_mad_u64_u32 v[24:25], s[0:1], s13, v25, v[10:11]
	v_add_u32_e32 v27, 0x253, v55
	v_mad_u64_u32 v[25:26], s[0:1], s12, v27, 0
	v_lshlrev_b64 v[19:20], 3, v[19:20]
	v_fmac_f32_e32 v34, 0xbf708fb2, v32
	v_add_co_u32_e32 v19, vcc, v0, v19
	v_addc_co_u32_e32 v20, vcc, v1, v20, vcc
	v_mov_b32_e32 v10, v26
	global_store_dwordx2 v[19:20], v[17:18], off
	v_mad_u64_u32 v[19:20], s[0:1], s13, v27, v[10:11]
	v_lshlrev_b64 v[17:18], 3, v[23:24]
	v_fmac_f32_e32 v35, 0xbf708fb2, v33
	v_add_co_u32_e32 v17, vcc, v0, v17
	v_sub_f32_e32 v2, v34, v4
	v_add_f32_e32 v3, v5, v35
	v_addc_co_u32_e32 v18, vcc, v1, v18, vcc
	v_mov_b32_e32 v26, v19
	v_add_u32_e32 v19, 0x330, v55
	global_store_dwordx2 v[17:18], v[2:3], off
	v_mad_u64_u32 v[17:18], s[0:1], s12, v19, 0
	v_fma_f32 v4, 2.0, v4, v2
	v_fma_f32 v5, -2.0, v5, v3
	v_mov_b32_e32 v10, v18
	v_mad_u64_u32 v[18:19], s[0:1], s13, v19, v[10:11]
	v_add_u32_e32 v10, 0x40d, v55
	v_lshlrev_b64 v[2:3], 3, v[25:26]
	v_mad_u64_u32 v[19:20], s[0:1], s12, v10, 0
	v_add_co_u32_e32 v2, vcc, v0, v2
	v_add_f32_e32 v7, v9, v40
	v_addc_co_u32_e32 v3, vcc, v1, v3, vcc
	v_fma_f32 v8, 2.0, v8, v6
	global_store_dwordx2 v[2:3], v[6:7], off
	v_mov_b32_e32 v6, v20
	v_fma_f32 v9, -2.0, v9, v7
	v_mad_u64_u32 v[6:7], s[0:1], s13, v10, v[6:7]
	v_add_u32_e32 v10, 0x4ea, v55
	v_lshlrev_b64 v[2:3], 3, v[17:18]
	v_mov_b32_e32 v20, v6
	v_mad_u64_u32 v[6:7], s[0:1], s12, v10, 0
	v_add_f32_e32 v40, v33, v37
	v_fmac_f32_e32 v12, -0.5, v40
	v_add_co_u32_e32 v2, vcc, v0, v2
	v_mul_f32_e32 v35, 0x3f5db3d7, v16
	v_fmac_f32_e32 v12, 0x3f5db3d7, v15
	v_addc_co_u32_e32 v3, vcc, v1, v3, vcc
	v_mul_f32_e32 v34, 0x3f5db3d7, v15
	v_fma_f32 v15, 2.0, v35, v11
	global_store_dwordx2 v[2:3], v[11:12], off
	v_mad_u64_u32 v[10:11], s[0:1], s13, v10, v[7:8]
	v_add_u32_e32 v17, 0x5c7, v55
	v_fma_f32 v16, -2.0, v34, v12
	v_lshlrev_b64 v[2:3], 3, v[19:20]
	v_mad_u64_u32 v[11:12], s[0:1], s12, v17, 0
	v_add_co_u32_e32 v2, vcc, v0, v2
	v_addc_co_u32_e32 v3, vcc, v1, v3, vcc
	v_mov_b32_e32 v7, v10
	global_store_dwordx2 v[2:3], v[13:14], off
	v_lshlrev_b64 v[2:3], 3, v[6:7]
	v_mov_b32_e32 v6, v12
	v_mad_u64_u32 v[6:7], s[0:1], s13, v17, v[6:7]
	v_add_u32_e32 v10, 0x6a4, v55
	v_add_co_u32_e32 v2, vcc, v0, v2
	v_mov_b32_e32 v12, v6
	v_mad_u64_u32 v[6:7], s[0:1], s12, v10, 0
	v_fma_f32 v21, 2.0, v28, v13
	v_addc_co_u32_e32 v3, vcc, v1, v3, vcc
	global_store_dwordx2 v[2:3], v[21:22], off
	v_lshlrev_b64 v[2:3], 3, v[11:12]
	v_mad_u64_u32 v[10:11], s[0:1], s13, v10, v[7:8]
	v_add_u32_e32 v13, 0x781, v55
	v_mad_u64_u32 v[11:12], s[0:1], s12, v13, 0
	v_add_co_u32_e32 v2, vcc, v0, v2
	v_addc_co_u32_e32 v3, vcc, v1, v3, vcc
	v_mov_b32_e32 v7, v10
	global_store_dwordx2 v[2:3], v[15:16], off
	v_lshlrev_b64 v[2:3], 3, v[6:7]
	v_mov_b32_e32 v6, v12
	v_mad_u64_u32 v[6:7], s[0:1], s13, v13, v[6:7]
	v_add_co_u32_e32 v2, vcc, v0, v2
	v_addc_co_u32_e32 v3, vcc, v1, v3, vcc
	v_mov_b32_e32 v12, v6
	global_store_dwordx2 v[2:3], v[8:9], off
	v_lshlrev_b64 v[2:3], 3, v[11:12]
	v_add_co_u32_e32 v0, vcc, v0, v2
	v_addc_co_u32_e32 v1, vcc, v1, v3, vcc
	global_store_dwordx2 v[0:1], v[4:5], off
.LBB0_22:
	s_endpgm
	.section	.rodata,"a",@progbits
	.p2align	6, 0x0
	.amdhsa_kernel fft_rtc_back_len1989_factors_17_13_9_wgs_153_tpt_153_halfLds_sp_ip_CI_sbrr_dirReg
		.amdhsa_group_segment_fixed_size 0
		.amdhsa_private_segment_fixed_size 0
		.amdhsa_kernarg_size 88
		.amdhsa_user_sgpr_count 6
		.amdhsa_user_sgpr_private_segment_buffer 1
		.amdhsa_user_sgpr_dispatch_ptr 0
		.amdhsa_user_sgpr_queue_ptr 0
		.amdhsa_user_sgpr_kernarg_segment_ptr 1
		.amdhsa_user_sgpr_dispatch_id 0
		.amdhsa_user_sgpr_flat_scratch_init 0
		.amdhsa_user_sgpr_private_segment_size 0
		.amdhsa_uses_dynamic_stack 0
		.amdhsa_system_sgpr_private_segment_wavefront_offset 0
		.amdhsa_system_sgpr_workgroup_id_x 1
		.amdhsa_system_sgpr_workgroup_id_y 0
		.amdhsa_system_sgpr_workgroup_id_z 0
		.amdhsa_system_sgpr_workgroup_info 0
		.amdhsa_system_vgpr_workitem_id 0
		.amdhsa_next_free_vgpr 127
		.amdhsa_next_free_sgpr 24
		.amdhsa_reserve_vcc 1
		.amdhsa_reserve_flat_scratch 0
		.amdhsa_float_round_mode_32 0
		.amdhsa_float_round_mode_16_64 0
		.amdhsa_float_denorm_mode_32 3
		.amdhsa_float_denorm_mode_16_64 3
		.amdhsa_dx10_clamp 1
		.amdhsa_ieee_mode 1
		.amdhsa_fp16_overflow 0
		.amdhsa_exception_fp_ieee_invalid_op 0
		.amdhsa_exception_fp_denorm_src 0
		.amdhsa_exception_fp_ieee_div_zero 0
		.amdhsa_exception_fp_ieee_overflow 0
		.amdhsa_exception_fp_ieee_underflow 0
		.amdhsa_exception_fp_ieee_inexact 0
		.amdhsa_exception_int_div_zero 0
	.end_amdhsa_kernel
	.text
.Lfunc_end0:
	.size	fft_rtc_back_len1989_factors_17_13_9_wgs_153_tpt_153_halfLds_sp_ip_CI_sbrr_dirReg, .Lfunc_end0-fft_rtc_back_len1989_factors_17_13_9_wgs_153_tpt_153_halfLds_sp_ip_CI_sbrr_dirReg
                                        ; -- End function
	.section	.AMDGPU.csdata,"",@progbits
; Kernel info:
; codeLenInByte = 13960
; NumSgprs: 28
; NumVgprs: 127
; ScratchSize: 0
; MemoryBound: 0
; FloatMode: 240
; IeeeMode: 1
; LDSByteSize: 0 bytes/workgroup (compile time only)
; SGPRBlocks: 3
; VGPRBlocks: 31
; NumSGPRsForWavesPerEU: 28
; NumVGPRsForWavesPerEU: 127
; Occupancy: 2
; WaveLimiterHint : 1
; COMPUTE_PGM_RSRC2:SCRATCH_EN: 0
; COMPUTE_PGM_RSRC2:USER_SGPR: 6
; COMPUTE_PGM_RSRC2:TRAP_HANDLER: 0
; COMPUTE_PGM_RSRC2:TGID_X_EN: 1
; COMPUTE_PGM_RSRC2:TGID_Y_EN: 0
; COMPUTE_PGM_RSRC2:TGID_Z_EN: 0
; COMPUTE_PGM_RSRC2:TIDIG_COMP_CNT: 0
	.type	__hip_cuid_601d126c03326a42,@object ; @__hip_cuid_601d126c03326a42
	.section	.bss,"aw",@nobits
	.globl	__hip_cuid_601d126c03326a42
__hip_cuid_601d126c03326a42:
	.byte	0                               ; 0x0
	.size	__hip_cuid_601d126c03326a42, 1

	.ident	"AMD clang version 19.0.0git (https://github.com/RadeonOpenCompute/llvm-project roc-6.4.0 25133 c7fe45cf4b819c5991fe208aaa96edf142730f1d)"
	.section	".note.GNU-stack","",@progbits
	.addrsig
	.addrsig_sym __hip_cuid_601d126c03326a42
	.amdgpu_metadata
---
amdhsa.kernels:
  - .args:
      - .actual_access:  read_only
        .address_space:  global
        .offset:         0
        .size:           8
        .value_kind:     global_buffer
      - .offset:         8
        .size:           8
        .value_kind:     by_value
      - .actual_access:  read_only
        .address_space:  global
        .offset:         16
        .size:           8
        .value_kind:     global_buffer
      - .actual_access:  read_only
        .address_space:  global
        .offset:         24
        .size:           8
        .value_kind:     global_buffer
      - .offset:         32
        .size:           8
        .value_kind:     by_value
      - .actual_access:  read_only
        .address_space:  global
        .offset:         40
        .size:           8
        .value_kind:     global_buffer
      - .actual_access:  read_only
        .address_space:  global
        .offset:         48
        .size:           8
        .value_kind:     global_buffer
      - .offset:         56
        .size:           4
        .value_kind:     by_value
      - .actual_access:  read_only
        .address_space:  global
        .offset:         64
        .size:           8
        .value_kind:     global_buffer
      - .actual_access:  read_only
        .address_space:  global
        .offset:         72
        .size:           8
        .value_kind:     global_buffer
      - .address_space:  global
        .offset:         80
        .size:           8
        .value_kind:     global_buffer
    .group_segment_fixed_size: 0
    .kernarg_segment_align: 8
    .kernarg_segment_size: 88
    .language:       OpenCL C
    .language_version:
      - 2
      - 0
    .max_flat_workgroup_size: 153
    .name:           fft_rtc_back_len1989_factors_17_13_9_wgs_153_tpt_153_halfLds_sp_ip_CI_sbrr_dirReg
    .private_segment_fixed_size: 0
    .sgpr_count:     28
    .sgpr_spill_count: 0
    .symbol:         fft_rtc_back_len1989_factors_17_13_9_wgs_153_tpt_153_halfLds_sp_ip_CI_sbrr_dirReg.kd
    .uniform_work_group_size: 1
    .uses_dynamic_stack: false
    .vgpr_count:     127
    .vgpr_spill_count: 0
    .wavefront_size: 64
amdhsa.target:   amdgcn-amd-amdhsa--gfx906
amdhsa.version:
  - 1
  - 2
...

	.end_amdgpu_metadata
